;; amdgpu-corpus repo=ROCm/rocFFT kind=compiled arch=gfx1100 opt=O3
	.text
	.amdgcn_target "amdgcn-amd-amdhsa--gfx1100"
	.amdhsa_code_object_version 6
	.protected	fft_rtc_back_len289_factors_17_17_wgs_119_tpt_17_dp_op_CI_CI_sbcc_twdbase5_3step_dirReg_intrinsicRead ; -- Begin function fft_rtc_back_len289_factors_17_17_wgs_119_tpt_17_dp_op_CI_CI_sbcc_twdbase5_3step_dirReg_intrinsicRead
	.globl	fft_rtc_back_len289_factors_17_17_wgs_119_tpt_17_dp_op_CI_CI_sbcc_twdbase5_3step_dirReg_intrinsicRead
	.p2align	8
	.type	fft_rtc_back_len289_factors_17_17_wgs_119_tpt_17_dp_op_CI_CI_sbcc_twdbase5_3step_dirReg_intrinsicRead,@function
fft_rtc_back_len289_factors_17_17_wgs_119_tpt_17_dp_op_CI_CI_sbcc_twdbase5_3step_dirReg_intrinsicRead: ; @fft_rtc_back_len289_factors_17_17_wgs_119_tpt_17_dp_op_CI_CI_sbcc_twdbase5_3step_dirReg_intrinsicRead
; %bb.0:
	s_clause 0x1
	s_load_b256 s[4:11], s[0:1], 0x8
	s_load_b64 s[24:25], s[0:1], 0x28
	v_mov_b32_e32 v5, v0
	s_mov_b32 s28, s15
	s_mov_b32 s2, exec_lo
	s_delay_alu instid0(VALU_DEP_1)
	v_cmpx_gt_u32_e32 0x60, v5
	s_cbranch_execz .LBB0_2
; %bb.1:
	v_lshlrev_b32_e32 v4, 4, v5
	s_waitcnt lgkmcnt(0)
	global_load_b128 v[0:3], v4, s[4:5]
	v_add3_u32 v4, 0, v4, 0x7e70
	s_waitcnt vmcnt(0)
	ds_store_2addr_b64 v4, v[0:1], v[2:3] offset1:1
.LBB0_2:
	s_or_b32 exec_lo, exec_lo, s2
	s_waitcnt lgkmcnt(0)
	s_load_b64 s[26:27], s[8:9], 0x8
	s_mov_b32 s29, 0
	s_waitcnt lgkmcnt(0)
	s_add_u32 s2, s26, -1
	s_addc_u32 s3, s27, -1
	s_add_u32 s4, 0, 0x92481000
	s_addc_u32 s5, 0, 0x64
	s_mul_hi_u32 s13, s4, -7
	s_add_i32 s5, s5, 0x249248c0
	s_sub_i32 s13, s13, s4
	s_mul_i32 s15, s5, -7
	s_mul_i32 s12, s4, -7
	s_add_i32 s13, s13, s15
	s_mul_hi_u32 s14, s4, s12
	s_mul_i32 s17, s4, s13
	s_mul_hi_u32 s15, s4, s13
	s_mul_hi_u32 s16, s5, s12
	s_mul_i32 s12, s5, s12
	s_add_u32 s14, s14, s17
	s_addc_u32 s15, 0, s15
	s_mul_hi_u32 s18, s5, s13
	s_add_u32 s12, s14, s12
	s_mul_i32 s13, s5, s13
	s_addc_u32 s12, s15, s16
	s_addc_u32 s14, s18, 0
	s_add_u32 s12, s12, s13
	s_delay_alu instid0(SALU_CYCLE_1) | instskip(SKIP_3) | instid1(VALU_DEP_1)
	v_add_co_u32 v0, s4, s4, s12
	s_addc_u32 s12, 0, s14
	s_cmp_lg_u32 s4, 0
	s_addc_u32 s4, s5, s12
	v_readfirstlane_b32 s5, v0
	s_mul_i32 s13, s2, s4
	s_mul_hi_u32 s12, s2, s4
	s_mul_hi_u32 s14, s3, s4
	s_mul_i32 s4, s3, s4
	s_mul_hi_u32 s15, s2, s5
	s_mul_hi_u32 s16, s3, s5
	s_mul_i32 s5, s3, s5
	s_add_u32 s13, s15, s13
	s_addc_u32 s12, 0, s12
	s_add_u32 s5, s13, s5
	s_addc_u32 s5, s12, s16
	s_addc_u32 s12, s14, 0
	s_add_u32 s4, s5, s4
	s_addc_u32 s5, 0, s12
	s_mul_i32 s13, s4, 7
	s_add_u32 s12, s4, 1
	v_sub_co_u32 v0, s2, s2, s13
	s_mul_hi_u32 s13, s4, 7
	s_addc_u32 s14, s5, 0
	s_mul_i32 s15, s5, 7
	s_delay_alu instid0(VALU_DEP_1)
	v_sub_co_u32 v1, s16, v0, 7
	s_add_u32 s17, s4, 2
	s_addc_u32 s18, s5, 0
	s_add_i32 s13, s13, s15
	s_cmp_lg_u32 s2, 0
	v_readfirstlane_b32 s2, v1
	s_subb_u32 s3, s3, s13
	s_cmp_lg_u32 s16, 0
	s_subb_u32 s13, s3, 0
	s_delay_alu instid0(VALU_DEP_1) | instskip(SKIP_4) | instid1(SALU_CYCLE_1)
	s_cmp_gt_u32 s2, 6
	s_cselect_b32 s2, -1, 0
	s_cmp_eq_u32 s13, 0
	v_readfirstlane_b32 s13, v0
	s_cselect_b32 s2, s2, -1
	s_cmp_lg_u32 s2, 0
	s_cselect_b32 s2, s17, s12
	s_cselect_b32 s12, s18, s14
	s_cmp_gt_u32 s13, 6
	s_cselect_b32 s13, -1, 0
	s_cmp_eq_u32 s3, 0
	s_cselect_b32 s3, s13, -1
	s_delay_alu instid0(SALU_CYCLE_1) | instskip(SKIP_4) | instid1(SALU_CYCLE_1)
	s_cmp_lg_u32 s3, 0
	s_cselect_b32 s2, s2, s4
	s_cselect_b32 s3, s12, s5
	s_add_u32 s30, s2, 1
	s_addc_u32 s31, s3, 0
	v_cmp_lt_u64_e64 s2, s[28:29], s[30:31]
	s_delay_alu instid0(VALU_DEP_1)
	s_and_b32 vcc_lo, exec_lo, s2
	s_mov_b64 s[2:3], 0
	s_cbranch_vccnz .LBB0_4
; %bb.3:
	v_cvt_f32_u32_e32 v0, s30
	s_sub_i32 s3, 0, s30
	s_delay_alu instid0(VALU_DEP_1) | instskip(SKIP_2) | instid1(VALU_DEP_1)
	v_rcp_iflag_f32_e32 v0, v0
	s_waitcnt_depctr 0xfff
	v_mul_f32_e32 v0, 0x4f7ffffe, v0
	v_cvt_u32_f32_e32 v0, v0
	s_delay_alu instid0(VALU_DEP_1) | instskip(NEXT) | instid1(VALU_DEP_1)
	v_readfirstlane_b32 s2, v0
	s_mul_i32 s3, s3, s2
	s_delay_alu instid0(SALU_CYCLE_1) | instskip(NEXT) | instid1(SALU_CYCLE_1)
	s_mul_hi_u32 s3, s2, s3
	s_add_i32 s2, s2, s3
	s_delay_alu instid0(SALU_CYCLE_1) | instskip(NEXT) | instid1(SALU_CYCLE_1)
	s_mul_hi_u32 s2, s28, s2
	s_mul_i32 s3, s2, s30
	s_add_i32 s4, s2, 1
	s_sub_i32 s3, s28, s3
	s_delay_alu instid0(SALU_CYCLE_1)
	s_sub_i32 s5, s3, s30
	s_cmp_ge_u32 s3, s30
	s_cselect_b32 s2, s4, s2
	s_cselect_b32 s3, s5, s3
	s_add_i32 s4, s2, 1
	s_cmp_ge_u32 s3, s30
	s_mov_b32 s3, s29
	s_cselect_b32 s2, s4, s2
.LBB0_4:
	s_load_b128 s[20:23], s[10:11], 0x0
	s_load_b128 s[12:15], s[24:25], 0x0
	s_clause 0x1
	s_load_b128 s[16:19], s[0:1], 0x60
	s_load_b64 s[4:5], s[0:1], 0x0
	s_mul_i32 s0, s2, s31
	s_mul_hi_u32 s1, s2, s30
	s_waitcnt lgkmcnt(0)
	s_mul_i32 s21, s2, s30
	s_add_i32 s1, s1, s0
	s_sub_u32 s33, s28, s21
	s_subb_u32 s0, 0, s1
	s_mul_hi_u32 s21, s33, 7
	s_mul_i32 s0, s0, 7
	v_cmp_lt_u64_e64 s34, s[6:7], 3
	s_add_i32 s21, s21, s0
	s_mul_i32 s33, s33, 7
	s_delay_alu instid0(VALU_DEP_1)
	s_and_b32 vcc_lo, exec_lo, s34
	s_mul_i32 s0, s22, s21
	s_mul_hi_u32 s1, s22, s33
	s_mul_i32 s36, s14, s21
	s_mul_hi_u32 s37, s14, s33
	s_mul_i32 s35, s23, s33
	s_mul_i32 s38, s15, s33
	s_add_i32 s0, s1, s0
	s_add_i32 s1, s37, s36
	s_mul_i32 s46, s22, s33
	s_add_i32 s47, s0, s35
	s_add_i32 s1, s1, s38
	s_mul_i32 s0, s14, s33
	s_cbranch_vccnz .LBB0_14
; %bb.5:
	s_add_u32 s34, s24, 16
	s_addc_u32 s35, s25, 0
	s_add_u32 s36, s10, 16
	s_addc_u32 s37, s11, 0
	;; [unrolled: 2-line block ×3, first 2 shown]
	s_mov_b64 s[38:39], 2
	s_mov_b32 s40, 0
.LBB0_6:                                ; =>This Inner Loop Header: Depth=1
	s_load_b64 s[42:43], s[8:9], 0x0
	s_waitcnt lgkmcnt(0)
	s_or_b64 s[44:45], s[2:3], s[42:43]
	s_delay_alu instid0(SALU_CYCLE_1) | instskip(NEXT) | instid1(SALU_CYCLE_1)
	s_mov_b32 s41, s45
                                        ; implicit-def: $sgpr44_sgpr45
	s_cmp_lg_u64 s[40:41], 0
	s_mov_b32 s41, -1
	s_cbranch_scc0 .LBB0_8
; %bb.7:                                ;   in Loop: Header=BB0_6 Depth=1
	v_cvt_f32_u32_e32 v0, s42
	v_cvt_f32_u32_e32 v1, s43
	s_sub_u32 s45, 0, s42
	s_subb_u32 s48, 0, s43
	s_delay_alu instid0(VALU_DEP_1) | instskip(NEXT) | instid1(VALU_DEP_1)
	v_fmac_f32_e32 v0, 0x4f800000, v1
	v_rcp_f32_e32 v0, v0
	s_waitcnt_depctr 0xfff
	v_mul_f32_e32 v0, 0x5f7ffffc, v0
	s_delay_alu instid0(VALU_DEP_1) | instskip(NEXT) | instid1(VALU_DEP_1)
	v_mul_f32_e32 v1, 0x2f800000, v0
	v_trunc_f32_e32 v1, v1
	s_delay_alu instid0(VALU_DEP_1) | instskip(SKIP_1) | instid1(VALU_DEP_2)
	v_fmac_f32_e32 v0, 0xcf800000, v1
	v_cvt_u32_f32_e32 v1, v1
	v_cvt_u32_f32_e32 v0, v0
	s_delay_alu instid0(VALU_DEP_2) | instskip(NEXT) | instid1(VALU_DEP_2)
	v_readfirstlane_b32 s41, v1
	v_readfirstlane_b32 s44, v0
	s_delay_alu instid0(VALU_DEP_2) | instskip(NEXT) | instid1(VALU_DEP_1)
	s_mul_i32 s49, s45, s41
	s_mul_hi_u32 s51, s45, s44
	s_mul_i32 s50, s48, s44
	s_add_i32 s49, s51, s49
	s_mul_i32 s52, s45, s44
	s_add_i32 s49, s49, s50
	s_mul_hi_u32 s51, s44, s52
	s_mul_hi_u32 s53, s41, s52
	s_mul_i32 s50, s41, s52
	s_mul_hi_u32 s52, s44, s49
	s_mul_i32 s44, s44, s49
	s_mul_hi_u32 s54, s41, s49
	s_add_u32 s44, s51, s44
	s_addc_u32 s51, 0, s52
	s_add_u32 s44, s44, s50
	s_mul_i32 s49, s41, s49
	s_addc_u32 s44, s51, s53
	s_addc_u32 s50, s54, 0
	s_add_u32 s44, s44, s49
	s_addc_u32 s49, 0, s50
	v_add_co_u32 v0, s44, v0, s44
	s_delay_alu instid0(VALU_DEP_1) | instskip(SKIP_1) | instid1(VALU_DEP_1)
	s_cmp_lg_u32 s44, 0
	s_addc_u32 s41, s41, s49
	v_readfirstlane_b32 s44, v0
	s_mul_i32 s49, s45, s41
	s_delay_alu instid0(VALU_DEP_1)
	s_mul_hi_u32 s50, s45, s44
	s_mul_i32 s48, s48, s44
	s_add_i32 s49, s50, s49
	s_mul_i32 s45, s45, s44
	s_add_i32 s49, s49, s48
	s_mul_hi_u32 s50, s41, s45
	s_mul_i32 s51, s41, s45
	s_mul_hi_u32 s45, s44, s45
	s_mul_hi_u32 s52, s44, s49
	s_mul_i32 s44, s44, s49
	s_mul_hi_u32 s48, s41, s49
	s_add_u32 s44, s45, s44
	s_addc_u32 s45, 0, s52
	s_add_u32 s44, s44, s51
	s_mul_i32 s49, s41, s49
	s_addc_u32 s44, s45, s50
	s_addc_u32 s45, s48, 0
	s_add_u32 s44, s44, s49
	s_addc_u32 s45, 0, s45
	v_add_co_u32 v0, s44, v0, s44
	s_delay_alu instid0(VALU_DEP_1) | instskip(SKIP_1) | instid1(VALU_DEP_1)
	s_cmp_lg_u32 s44, 0
	s_addc_u32 s41, s41, s45
	v_readfirstlane_b32 s44, v0
	s_mul_i32 s48, s2, s41
	s_mul_hi_u32 s45, s2, s41
	s_mul_hi_u32 s49, s3, s41
	s_mul_i32 s41, s3, s41
	s_mul_hi_u32 s50, s2, s44
	s_mul_hi_u32 s51, s3, s44
	s_mul_i32 s44, s3, s44
	s_add_u32 s48, s50, s48
	s_addc_u32 s45, 0, s45
	s_add_u32 s44, s48, s44
	s_addc_u32 s44, s45, s51
	s_addc_u32 s45, s49, 0
	s_add_u32 s44, s44, s41
	s_addc_u32 s45, 0, s45
	s_mul_hi_u32 s41, s42, s44
	s_mul_i32 s49, s42, s45
	s_mul_i32 s50, s42, s44
	s_add_i32 s41, s41, s49
	v_sub_co_u32 v0, s49, s2, s50
	s_mul_i32 s48, s43, s44
	s_delay_alu instid0(SALU_CYCLE_1) | instskip(NEXT) | instid1(VALU_DEP_1)
	s_add_i32 s41, s41, s48
	v_sub_co_u32 v1, s50, v0, s42
	s_sub_i32 s48, s3, s41
	s_cmp_lg_u32 s49, 0
	s_subb_u32 s48, s48, s43
	s_cmp_lg_u32 s50, 0
	v_readfirstlane_b32 s50, v1
	s_subb_u32 s48, s48, 0
	s_delay_alu instid0(SALU_CYCLE_1) | instskip(SKIP_1) | instid1(VALU_DEP_1)
	s_cmp_ge_u32 s48, s43
	s_cselect_b32 s51, -1, 0
	s_cmp_ge_u32 s50, s42
	s_cselect_b32 s50, -1, 0
	s_cmp_eq_u32 s48, s43
	s_cselect_b32 s48, s50, s51
	s_add_u32 s50, s44, 1
	s_addc_u32 s51, s45, 0
	s_add_u32 s52, s44, 2
	s_addc_u32 s53, s45, 0
	s_cmp_lg_u32 s48, 0
	s_cselect_b32 s48, s52, s50
	s_cselect_b32 s50, s53, s51
	s_cmp_lg_u32 s49, 0
	v_readfirstlane_b32 s49, v0
	s_subb_u32 s41, s3, s41
	s_delay_alu instid0(SALU_CYCLE_1) | instskip(SKIP_1) | instid1(VALU_DEP_1)
	s_cmp_ge_u32 s41, s43
	s_cselect_b32 s51, -1, 0
	s_cmp_ge_u32 s49, s42
	s_cselect_b32 s49, -1, 0
	s_cmp_eq_u32 s41, s43
	s_cselect_b32 s41, s49, s51
	s_delay_alu instid0(SALU_CYCLE_1)
	s_cmp_lg_u32 s41, 0
	s_mov_b32 s41, 0
	s_cselect_b32 s45, s50, s45
	s_cselect_b32 s44, s48, s44
.LBB0_8:                                ;   in Loop: Header=BB0_6 Depth=1
	s_and_not1_b32 vcc_lo, exec_lo, s41
	s_cbranch_vccnz .LBB0_10
; %bb.9:                                ;   in Loop: Header=BB0_6 Depth=1
	v_cvt_f32_u32_e32 v0, s42
	s_sub_i32 s44, 0, s42
	s_waitcnt_depctr 0xfff
	v_rcp_iflag_f32_e32 v0, v0
	s_waitcnt_depctr 0xfff
	v_mul_f32_e32 v0, 0x4f7ffffe, v0
	s_delay_alu instid0(VALU_DEP_1) | instskip(NEXT) | instid1(VALU_DEP_1)
	v_cvt_u32_f32_e32 v0, v0
	v_readfirstlane_b32 s41, v0
	s_delay_alu instid0(VALU_DEP_1) | instskip(NEXT) | instid1(SALU_CYCLE_1)
	s_mul_i32 s44, s44, s41
	s_mul_hi_u32 s44, s41, s44
	s_delay_alu instid0(SALU_CYCLE_1) | instskip(NEXT) | instid1(SALU_CYCLE_1)
	s_add_i32 s41, s41, s44
	s_mul_hi_u32 s41, s2, s41
	s_delay_alu instid0(SALU_CYCLE_1) | instskip(SKIP_2) | instid1(SALU_CYCLE_1)
	s_mul_i32 s44, s41, s42
	s_add_i32 s45, s41, 1
	s_sub_i32 s44, s2, s44
	s_sub_i32 s48, s44, s42
	s_cmp_ge_u32 s44, s42
	s_cselect_b32 s41, s45, s41
	s_cselect_b32 s44, s48, s44
	s_add_i32 s45, s41, 1
	s_cmp_ge_u32 s44, s42
	s_cselect_b32 s44, s45, s41
	s_mov_b32 s45, s40
.LBB0_10:                               ;   in Loop: Header=BB0_6 Depth=1
	s_load_b64 s[48:49], s[36:37], 0x0
	s_load_b64 s[50:51], s[34:35], 0x0
	s_mul_i32 s31, s42, s31
	s_mul_hi_u32 s41, s42, s30
	s_mul_i32 s52, s43, s30
	s_mul_i32 s43, s44, s43
	s_mul_hi_u32 s53, s44, s42
	s_mul_i32 s54, s45, s42
	s_add_i32 s31, s41, s31
	s_add_i32 s41, s53, s43
	s_mul_i32 s55, s44, s42
	s_add_i32 s31, s31, s52
	s_add_i32 s41, s41, s54
	s_sub_u32 s2, s2, s55
	s_subb_u32 s3, s3, s41
	s_mul_i32 s30, s42, s30
	s_waitcnt lgkmcnt(0)
	s_mul_i32 s41, s48, s3
	s_mul_hi_u32 s43, s48, s2
	s_mul_i32 s49, s49, s2
	s_add_i32 s41, s43, s41
	s_mul_i32 s48, s48, s2
	s_mul_i32 s3, s50, s3
	s_mul_hi_u32 s43, s50, s2
	s_add_i32 s41, s41, s49
	s_add_u32 s46, s48, s46
	s_addc_u32 s47, s41, s47
	s_add_i32 s3, s43, s3
	s_mul_i32 s41, s51, s2
	s_mul_i32 s2, s50, s2
	s_add_i32 s3, s3, s41
	s_add_u32 s0, s2, s0
	s_addc_u32 s1, s3, s1
	s_add_u32 s38, s38, 1
	s_addc_u32 s39, s39, 0
	s_add_u32 s34, s34, 8
	v_cmp_ge_u64_e64 s2, s[38:39], s[6:7]
	s_addc_u32 s35, s35, 0
	s_add_u32 s36, s36, 8
	s_addc_u32 s37, s37, 0
	s_add_u32 s8, s8, 8
	s_addc_u32 s9, s9, 0
	s_and_b32 vcc_lo, exec_lo, s2
	s_cbranch_vccnz .LBB0_12
; %bb.11:                               ;   in Loop: Header=BB0_6 Depth=1
	s_mov_b64 s[2:3], s[44:45]
	s_branch .LBB0_6
.LBB0_12:
	v_cmp_lt_u64_e64 s2, s[28:29], s[30:31]
	s_delay_alu instid0(VALU_DEP_1)
	s_and_b32 vcc_lo, exec_lo, s2
	s_mov_b64 s[2:3], 0
	s_cbranch_vccnz .LBB0_14
; %bb.13:
	v_cvt_f32_u32_e32 v0, s30
	s_sub_i32 s3, 0, s30
	s_delay_alu instid0(VALU_DEP_1) | instskip(SKIP_2) | instid1(VALU_DEP_1)
	v_rcp_iflag_f32_e32 v0, v0
	s_waitcnt_depctr 0xfff
	v_mul_f32_e32 v0, 0x4f7ffffe, v0
	v_cvt_u32_f32_e32 v0, v0
	s_delay_alu instid0(VALU_DEP_1) | instskip(NEXT) | instid1(VALU_DEP_1)
	v_readfirstlane_b32 s2, v0
	s_mul_i32 s3, s3, s2
	s_delay_alu instid0(SALU_CYCLE_1) | instskip(NEXT) | instid1(SALU_CYCLE_1)
	s_mul_hi_u32 s3, s2, s3
	s_add_i32 s2, s2, s3
	s_delay_alu instid0(SALU_CYCLE_1) | instskip(NEXT) | instid1(SALU_CYCLE_1)
	s_mul_hi_u32 s2, s28, s2
	s_mul_i32 s3, s2, s30
	s_add_i32 s8, s2, 1
	s_sub_i32 s3, s28, s3
	s_delay_alu instid0(SALU_CYCLE_1)
	s_sub_i32 s9, s3, s30
	s_cmp_ge_u32 s3, s30
	s_cselect_b32 s2, s8, s2
	s_cselect_b32 s3, s9, s3
	s_add_i32 s8, s2, 1
	s_cmp_ge_u32 s3, s30
	s_cselect_b32 s2, s8, s2
.LBB0_14:
	v_mul_hi_u32 v69, 0x24924925, v5
	s_lshl_b64 s[8:9], s[6:7], 3
	s_delay_alu instid0(SALU_CYCLE_1) | instskip(SKIP_2) | instid1(VALU_DEP_1)
	s_add_u32 s6, s10, s8
	s_addc_u32 s7, s11, s9
	s_load_b64 s[6:7], s[6:7], 0x0
	v_mul_u32_u24_e32 v0, 7, v69
	s_delay_alu instid0(VALU_DEP_1)
	v_sub_nc_u32_e32 v0, v5, v0
	s_clause 0x1
	scratch_store_b32 off, v5, off offset:212
	scratch_store_b32 off, v0, off
	v_mad_u64_u32 v[71:72], null, s22, v0, 0
	v_add_co_u32 v4, s3, s33, v0
	v_mov_b32_e32 v7, 0
	v_mov_b32_e32 v8, 0
	v_add_co_ci_u32_e64 v5, null, s21, 0, s3
	v_mov_b32_e32 v1, v72
	s_waitcnt lgkmcnt(0)
	s_mul_i32 s3, s6, s2
	s_delay_alu instid0(SALU_CYCLE_1)
	s_add_u32 s6, s3, s46
	s_add_u32 s60, s24, s8
	s_addc_u32 s61, s25, s9
	s_add_u32 s8, s33, 7
	v_mad_u64_u32 v[2:3], null, s23, v0, v[1:2]
	v_mov_b32_e32 v0, v4
	s_addc_u32 s9, s21, 0
	v_cmp_gt_u64_e32 vcc_lo, s[26:27], v[4:5]
	v_cmp_le_u64_e64 s3, s[8:9], s[26:27]
	v_mov_b32_e32 v3, v7
	scratch_store_b64 off, v[0:1], off offset:216 ; 8-byte Folded Spill
	v_dual_mov_b32 v1, v7 :: v_dual_mov_b32 v2, v8
	v_dual_mov_b32 v5, 0 :: v_dual_mov_b32 v4, v8
	s_or_b32 s3, s3, vcc_lo
	s_delay_alu instid0(SALU_CYCLE_1)
	s_and_saveexec_b32 s7, s3
	s_cbranch_execz .LBB0_16
; %bb.15:
	v_mul_lo_u32 v0, s20, v69
	s_delay_alu instid0(VALU_DEP_1) | instskip(NEXT) | instid1(VALU_DEP_1)
	v_add3_u32 v4, s6, v71, v0
	v_lshlrev_b64 v[1:2], 4, v[4:5]
	s_delay_alu instid0(VALU_DEP_1) | instskip(NEXT) | instid1(VALU_DEP_2)
	v_add_co_u32 v1, vcc_lo, s16, v1
	v_add_co_ci_u32_e32 v2, vcc_lo, s17, v2, vcc_lo
	global_load_b128 v[1:4], v[1:2], off
.LBB0_16:
	s_or_b32 exec_lo, exec_lo, s7
	v_dual_mov_b32 v5, v7 :: v_dual_mov_b32 v6, v8
	s_and_saveexec_b32 s7, s3
	s_cbranch_execz .LBB0_18
; %bb.17:
	v_add_nc_u32_e32 v0, 17, v69
	v_mov_b32_e32 v6, 0
	s_delay_alu instid0(VALU_DEP_2) | instskip(NEXT) | instid1(VALU_DEP_1)
	v_mul_lo_u32 v0, s20, v0
	v_add3_u32 v5, s6, v71, v0
	s_delay_alu instid0(VALU_DEP_1) | instskip(NEXT) | instid1(VALU_DEP_1)
	v_lshlrev_b64 v[5:6], 4, v[5:6]
	v_add_co_u32 v5, vcc_lo, s16, v5
	s_delay_alu instid0(VALU_DEP_2)
	v_add_co_ci_u32_e32 v6, vcc_lo, s17, v6, vcc_lo
	global_load_b128 v[5:8], v[5:6], off
.LBB0_18:
	s_or_b32 exec_lo, exec_lo, s7
	v_mov_b32_e32 v15, 0
	v_mov_b32_e32 v16, 0
	s_delay_alu instid0(VALU_DEP_2) | instskip(NEXT) | instid1(VALU_DEP_2)
	v_mov_b32_e32 v11, v15
	v_dual_mov_b32 v9, v15 :: v_dual_mov_b32 v10, v16
	v_mov_b32_e32 v12, v16
	s_and_saveexec_b32 s7, s3
	s_cbranch_execz .LBB0_20
; %bb.19:
	v_add_nc_u32_e32 v0, 34, v69
	v_mov_b32_e32 v10, 0
	s_delay_alu instid0(VALU_DEP_2) | instskip(NEXT) | instid1(VALU_DEP_1)
	v_mul_lo_u32 v0, s20, v0
	v_add3_u32 v9, s6, v71, v0
	s_delay_alu instid0(VALU_DEP_1) | instskip(NEXT) | instid1(VALU_DEP_1)
	v_lshlrev_b64 v[9:10], 4, v[9:10]
	v_add_co_u32 v9, vcc_lo, s16, v9
	s_delay_alu instid0(VALU_DEP_2)
	v_add_co_ci_u32_e32 v10, vcc_lo, s17, v10, vcc_lo
	global_load_b128 v[9:12], v[9:10], off
.LBB0_20:
	s_or_b32 exec_lo, exec_lo, s7
	v_dual_mov_b32 v13, v15 :: v_dual_mov_b32 v14, v16
	s_and_saveexec_b32 s7, s3
	s_cbranch_execz .LBB0_22
; %bb.21:
	v_add_nc_u32_e32 v0, 51, v69
	v_mov_b32_e32 v14, 0
	s_delay_alu instid0(VALU_DEP_2) | instskip(NEXT) | instid1(VALU_DEP_1)
	v_mul_lo_u32 v0, s20, v0
	v_add3_u32 v13, s6, v71, v0
	s_delay_alu instid0(VALU_DEP_1) | instskip(NEXT) | instid1(VALU_DEP_1)
	v_lshlrev_b64 v[13:14], 4, v[13:14]
	v_add_co_u32 v13, vcc_lo, s16, v13
	s_delay_alu instid0(VALU_DEP_2)
	v_add_co_ci_u32_e32 v14, vcc_lo, s17, v14, vcc_lo
	global_load_b128 v[13:16], v[13:14], off
.LBB0_22:
	s_or_b32 exec_lo, exec_lo, s7
	v_mov_b32_e32 v23, 0
	v_mov_b32_e32 v24, 0
	s_delay_alu instid0(VALU_DEP_2) | instskip(NEXT) | instid1(VALU_DEP_2)
	v_mov_b32_e32 v19, v23
	v_dual_mov_b32 v17, v23 :: v_dual_mov_b32 v18, v24
	v_mov_b32_e32 v20, v24
	s_and_saveexec_b32 s7, s3
	s_cbranch_execz .LBB0_24
; %bb.23:
	v_add_nc_u32_e32 v0, 0x44, v69
	v_mov_b32_e32 v18, 0
	s_delay_alu instid0(VALU_DEP_2) | instskip(NEXT) | instid1(VALU_DEP_1)
	v_mul_lo_u32 v0, s20, v0
	v_add3_u32 v17, s6, v71, v0
	s_delay_alu instid0(VALU_DEP_1) | instskip(NEXT) | instid1(VALU_DEP_1)
	v_lshlrev_b64 v[17:18], 4, v[17:18]
	v_add_co_u32 v17, vcc_lo, s16, v17
	s_delay_alu instid0(VALU_DEP_2)
	v_add_co_ci_u32_e32 v18, vcc_lo, s17, v18, vcc_lo
	global_load_b128 v[17:20], v[17:18], off
.LBB0_24:
	;; [unrolled: 39-line block ×3, first 2 shown]
	s_or_b32 exec_lo, exec_lo, s7
	v_dual_mov_b32 v29, v31 :: v_dual_mov_b32 v30, v32
	s_and_saveexec_b32 s7, s3
	s_cbranch_execz .LBB0_30
; %bb.29:
	v_add_nc_u32_e32 v0, 0x77, v69
	v_mov_b32_e32 v30, 0
	s_delay_alu instid0(VALU_DEP_2) | instskip(NEXT) | instid1(VALU_DEP_1)
	v_mul_lo_u32 v0, s20, v0
	v_add3_u32 v29, s6, v71, v0
	s_delay_alu instid0(VALU_DEP_1) | instskip(NEXT) | instid1(VALU_DEP_1)
	v_lshlrev_b64 v[29:30], 4, v[29:30]
	v_add_co_u32 v29, vcc_lo, s16, v29
	s_delay_alu instid0(VALU_DEP_2)
	v_add_co_ci_u32_e32 v30, vcc_lo, s17, v30, vcc_lo
	global_load_b128 v[29:32], v[29:30], off
.LBB0_30:
	s_or_b32 exec_lo, exec_lo, s7
	v_mov_b32_e32 v35, 0
	v_mov_b32_e32 v36, 0
	s_delay_alu instid0(VALU_DEP_1)
	v_dual_mov_b32 v40, v36 :: v_dual_mov_b32 v39, v35
	v_dual_mov_b32 v38, v36 :: v_dual_mov_b32 v37, v35
	s_and_saveexec_b32 s7, s3
	s_cbranch_execz .LBB0_32
; %bb.31:
	v_add_nc_u32_e32 v0, 0x88, v69
	v_mov_b32_e32 v34, 0
	s_delay_alu instid0(VALU_DEP_2) | instskip(NEXT) | instid1(VALU_DEP_1)
	v_mul_lo_u32 v0, s20, v0
	v_add3_u32 v33, s6, v71, v0
	s_delay_alu instid0(VALU_DEP_1) | instskip(NEXT) | instid1(VALU_DEP_1)
	v_lshlrev_b64 v[33:34], 4, v[33:34]
	v_add_co_u32 v33, vcc_lo, s16, v33
	s_delay_alu instid0(VALU_DEP_2)
	v_add_co_ci_u32_e32 v34, vcc_lo, s17, v34, vcc_lo
	global_load_b128 v[37:40], v[33:34], off
.LBB0_32:
	s_or_b32 exec_lo, exec_lo, s7
	v_dual_mov_b32 v33, v35 :: v_dual_mov_b32 v34, v36
	s_and_saveexec_b32 s7, s3
	s_cbranch_execz .LBB0_34
; %bb.33:
	v_add_nc_u32_e32 v0, 0x99, v69
	v_mov_b32_e32 v34, 0
	s_delay_alu instid0(VALU_DEP_2) | instskip(NEXT) | instid1(VALU_DEP_1)
	v_mul_lo_u32 v0, s20, v0
	v_add3_u32 v33, s6, v71, v0
	s_delay_alu instid0(VALU_DEP_1) | instskip(NEXT) | instid1(VALU_DEP_1)
	v_lshlrev_b64 v[33:34], 4, v[33:34]
	v_add_co_u32 v33, vcc_lo, s16, v33
	s_delay_alu instid0(VALU_DEP_2)
	v_add_co_ci_u32_e32 v34, vcc_lo, s17, v34, vcc_lo
	global_load_b128 v[33:36], v[33:34], off
.LBB0_34:
	s_or_b32 exec_lo, exec_lo, s7
	v_mov_b32_e32 v43, 0
	v_mov_b32_e32 v44, 0
	s_delay_alu instid0(VALU_DEP_1)
	v_dual_mov_b32 v48, v44 :: v_dual_mov_b32 v47, v43
	v_dual_mov_b32 v46, v44 :: v_dual_mov_b32 v45, v43
	s_and_saveexec_b32 s7, s3
	s_cbranch_execz .LBB0_36
; %bb.35:
	v_add_nc_u32_e32 v0, 0xaa, v69
	v_mov_b32_e32 v42, 0
	s_delay_alu instid0(VALU_DEP_2) | instskip(NEXT) | instid1(VALU_DEP_1)
	v_mul_lo_u32 v0, s20, v0
	v_add3_u32 v41, s6, v71, v0
	s_delay_alu instid0(VALU_DEP_1) | instskip(NEXT) | instid1(VALU_DEP_1)
	v_lshlrev_b64 v[41:42], 4, v[41:42]
	v_add_co_u32 v41, vcc_lo, s16, v41
	s_delay_alu instid0(VALU_DEP_2)
	v_add_co_ci_u32_e32 v42, vcc_lo, s17, v42, vcc_lo
	global_load_b128 v[45:48], v[41:42], off
.LBB0_36:
	;; [unrolled: 38-line block ×4, first 2 shown]
	s_or_b32 exec_lo, exec_lo, s7
	v_dual_mov_b32 v57, v59 :: v_dual_mov_b32 v58, v60
	s_and_saveexec_b32 s7, s3
	s_cbranch_execz .LBB0_46
; %bb.45:
	v_add_nc_u32_e32 v0, 0xff, v69
	v_mov_b32_e32 v58, 0
	s_delay_alu instid0(VALU_DEP_2) | instskip(NEXT) | instid1(VALU_DEP_1)
	v_mul_lo_u32 v0, s20, v0
	v_add3_u32 v57, s6, v71, v0
	s_delay_alu instid0(VALU_DEP_1) | instskip(NEXT) | instid1(VALU_DEP_1)
	v_lshlrev_b64 v[57:58], 4, v[57:58]
	v_add_co_u32 v57, vcc_lo, s16, v57
	s_delay_alu instid0(VALU_DEP_2)
	v_add_co_ci_u32_e32 v58, vcc_lo, s17, v58, vcc_lo
	global_load_b128 v[57:60], v[57:58], off
.LBB0_46:
	s_or_b32 exec_lo, exec_lo, s7
	v_mov_b32_e32 v67, 0
	v_mov_b32_e32 v68, 0
	s_delay_alu instid0(VALU_DEP_1)
	v_dual_mov_b32 v65, v67 :: v_dual_mov_b32 v66, v68
	s_and_saveexec_b32 s7, s3
	s_cbranch_execz .LBB0_48
; %bb.47:
	v_add_nc_u32_e32 v0, 0x110, v69
	v_mov_b32_e32 v66, 0
	s_delay_alu instid0(VALU_DEP_2) | instskip(NEXT) | instid1(VALU_DEP_1)
	v_mul_lo_u32 v0, s20, v0
	v_add3_u32 v65, s6, v71, v0
	s_delay_alu instid0(VALU_DEP_1) | instskip(NEXT) | instid1(VALU_DEP_1)
	v_lshlrev_b64 v[65:66], 4, v[65:66]
	v_add_co_u32 v65, vcc_lo, s16, v65
	s_delay_alu instid0(VALU_DEP_2)
	v_add_co_ci_u32_e32 v66, vcc_lo, s17, v66, vcc_lo
	global_load_b128 v[65:68], v[65:66], off
.LBB0_48:
	s_or_b32 exec_lo, exec_lo, s7
	s_waitcnt vmcnt(0)
	v_add_f64 v[70:71], v[1:2], v[5:6]
	v_add_f64 v[72:73], v[3:4], v[7:8]
	v_add_f64 v[130:131], v[37:38], -v[33:34]
	v_add_f64 v[132:133], v[39:40], -v[35:36]
	;; [unrolled: 1-line block ×14, first 2 shown]
	s_mov_b32 s38, 0x5d8e7cdc
	s_mov_b32 s42, 0x2a9d6da3
	;; [unrolled: 1-line block ×22, first 2 shown]
	v_add_f64 v[70:71], v[70:71], v[9:10]
	v_add_f64 v[72:73], v[72:73], v[11:12]
	s_mov_b32 s6, 0x910ea3b9
	s_mov_b32 s22, 0x7faef3
	;; [unrolled: 1-line block ×10, first 2 shown]
	v_mul_f64 v[110:111], v[168:169], s[36:37]
	v_mul_f64 v[112:113], v[158:159], s[36:37]
	s_mov_b32 s57, 0x3fe0d888
	s_mov_b32 s56, s34
	;; [unrolled: 1-line block ×3, first 2 shown]
	v_mul_f64 v[114:115], v[148:149], s[56:57]
	v_mul_f64 v[116:117], v[142:143], s[56:57]
	s_mov_b32 s52, s28
	s_mov_b32 s47, 0x3feca52d
	v_mul_f64 v[118:119], v[140:141], s[52:53]
	v_mul_f64 v[120:121], v[138:139], s[52:53]
	s_mov_b32 s46, s44
	s_mov_b32 s49, 0x3fd71e95
	v_mul_f64 v[122:123], v[136:137], s[46:47]
	v_mul_f64 v[124:125], v[134:135], s[46:47]
	s_mov_b32 s48, s38
	v_mul_f64 v[144:145], v[188:189], s[30:31]
	v_mul_f64 v[126:127], v[132:133], s[48:49]
	;; [unrolled: 1-line block ×3, first 2 shown]
	s_mov_b32 s63, 0x3fc7851a
	s_mov_b32 s62, s36
	v_mul_f64 v[154:155], v[168:169], s[52:53]
	v_mul_f64 v[152:153], v[174:175], s[62:63]
	;; [unrolled: 1-line block ×3, first 2 shown]
	s_mov_b32 s51, 0x3fe58eea
	s_mov_b32 s50, s42
	v_add_f64 v[70:71], v[70:71], v[13:14]
	v_add_f64 v[72:73], v[72:73], v[15:16]
	v_mul_f64 v[160:161], v[148:149], s[50:51]
	v_mul_f64 v[162:163], v[142:143], s[50:51]
	;; [unrolled: 1-line block ×18, first 2 shown]
	s_mov_b32 s59, 0x3fe9895b
	s_mov_b32 s58, s30
	v_mul_f64 v[240:241], v[132:133], s[50:51]
	v_mul_f64 v[236:237], v[136:137], s[58:59]
	;; [unrolled: 1-line block ×10, first 2 shown]
	s_mov_b32 s55, 0x3fefdd0d
	s_mov_b32 s54, s40
	s_load_b64 s[60:61], s[60:61], 0x0
	v_add_f64 v[70:71], v[70:71], v[17:18]
	v_add_f64 v[72:73], v[72:73], v[19:20]
	s_delay_alu instid0(VALU_DEP_2) | instskip(NEXT) | instid1(VALU_DEP_2)
	v_add_f64 v[70:71], v[70:71], v[21:22]
	v_add_f64 v[72:73], v[72:73], v[23:24]
	s_delay_alu instid0(VALU_DEP_2) | instskip(NEXT) | instid1(VALU_DEP_2)
	;; [unrolled: 3-line block ×4, first 2 shown]
	v_add_f64 v[74:75], v[70:71], v[37:38]
	v_add_f64 v[76:77], v[72:73], v[39:40]
	;; [unrolled: 1-line block ×4, first 2 shown]
	s_delay_alu instid0(VALU_DEP_4) | instskip(NEXT) | instid1(VALU_DEP_4)
	v_add_f64 v[37:38], v[74:75], v[33:34]
	v_add_f64 v[39:40], v[76:77], v[35:36]
	;; [unrolled: 1-line block ×10, first 2 shown]
	s_delay_alu instid0(VALU_DEP_4) | instskip(NEXT) | instid1(VALU_DEP_4)
	v_add_f64 v[25:26], v[37:38], v[41:42]
	v_add_f64 v[27:28], v[39:40], v[43:44]
	;; [unrolled: 1-line block ×8, first 2 shown]
	s_delay_alu instid0(VALU_DEP_2) | instskip(NEXT) | instid1(VALU_DEP_2)
	v_add_f64 v[17:18], v[21:22], v[49:50]
	v_add_f64 v[19:20], v[23:24], v[51:52]
	v_add_f64 v[49:50], v[9:10], v[57:58]
	v_add_f64 v[51:52], v[11:12], v[59:60]
	s_delay_alu instid0(VALU_DEP_4) | instskip(NEXT) | instid1(VALU_DEP_4)
	v_add_f64 v[13:14], v[17:18], v[61:62]
	v_add_f64 v[15:16], v[19:20], v[63:64]
	v_add_f64 v[19:20], v[5:6], -v[65:66]
	v_add_f64 v[17:18], v[7:8], v[67:68]
	s_delay_alu instid0(VALU_DEP_4) | instskip(NEXT) | instid1(VALU_DEP_4)
	v_add_f64 v[9:10], v[13:14], v[57:58]
	v_add_f64 v[11:12], v[15:16], v[59:60]
	v_add_f64 v[13:14], v[7:8], -v[67:68]
	v_add_f64 v[15:16], v[5:6], v[65:66]
	v_mul_f64 v[61:62], v[19:20], s[44:45]
	v_mul_f64 v[80:81], v[19:20], s[40:41]
	;; [unrolled: 1-line block ×5, first 2 shown]
	v_add_f64 v[182:183], v[9:10], v[65:66]
	v_add_f64 v[184:185], v[11:12], v[67:68]
	v_mul_f64 v[9:10], v[13:14], s[38:39]
	v_mul_f64 v[11:12], v[13:14], s[42:43]
	;; [unrolled: 1-line block ×8, first 2 shown]
	v_fma_f64 v[98:99], v[17:18], s[26:27], v[61:62]
	v_fma_f64 v[100:101], v[17:18], s[8:9], -v[80:81]
	v_fma_f64 v[80:81], v[17:18], s[8:9], v[80:81]
	v_fma_f64 v[94:95], v[17:18], s[26:27], -v[61:62]
	v_fma_f64 v[102:103], v[17:18], s[20:21], -v[82:83]
	v_fma_f64 v[82:83], v[17:18], s[20:21], v[82:83]
	v_fma_f64 v[104:105], v[17:18], s[24:25], -v[84:85]
	v_fma_f64 v[84:85], v[17:18], s[24:25], v[84:85]
	;; [unrolled: 2-line block ×3, first 2 shown]
	v_mul_f64 v[61:62], v[136:137], s[38:39]
	v_fma_f64 v[55:56], v[15:16], s[10:11], v[9:10]
	v_fma_f64 v[9:10], v[15:16], s[10:11], -v[9:10]
	v_fma_f64 v[57:58], v[15:16], s[16:17], v[11:12]
	v_fma_f64 v[11:12], v[15:16], s[16:17], -v[11:12]
	;; [unrolled: 2-line block ×8, first 2 shown]
	v_mul_f64 v[15:16], v[19:20], s[38:39]
	v_mul_f64 v[53:54], v[19:20], s[42:43]
	;; [unrolled: 1-line block ×3, first 2 shown]
	v_add_f64 v[150:151], v[3:4], v[94:95]
	v_add_f64 v[190:191], v[3:4], v[100:101]
	;; [unrolled: 1-line block ×7, first 2 shown]
	v_mul_f64 v[102:103], v[188:189], s[40:41]
	v_mul_f64 v[104:105], v[186:187], s[40:41]
	v_add_f64 v[5:6], v[1:2], v[9:10]
	v_add_f64 v[9:10], v[1:2], v[57:58]
	v_mul_f64 v[57:58], v[140:141], s[54:55]
	v_add_f64 v[146:147], v[1:2], v[59:60]
	v_mul_f64 v[59:60], v[138:139], s[54:55]
	v_add_f64 v[100:101], v[1:2], v[25:26]
	v_add_f64 v[25:26], v[1:2], v[67:68]
	;; [unrolled: 1-line block ×7, first 2 shown]
	v_fma_f64 v[88:89], v[17:18], s[10:11], -v[15:16]
	v_fma_f64 v[15:16], v[17:18], s[10:11], v[15:16]
	v_fma_f64 v[92:93], v[17:18], s[16:17], v[53:54]
	v_fma_f64 v[90:91], v[17:18], s[16:17], -v[53:54]
	v_fma_f64 v[108:109], v[17:18], s[22:23], -v[19:20]
	v_fma_f64 v[17:18], v[17:18], s[22:23], v[19:20]
	v_add_f64 v[19:20], v[1:2], v[55:56]
	v_mul_f64 v[67:68], v[136:137], s[34:35]
	v_mul_f64 v[74:75], v[176:177], s[30:31]
	;; [unrolled: 1-line block ×3, first 2 shown]
	v_fma_f64 v[27:28], v[45:46], s[16:17], v[248:249]
	v_mul_f64 v[53:54], v[148:149], s[36:37]
	v_mul_f64 v[55:56], v[142:143], s[36:37]
	scratch_store_b64 off, v[5:6], off offset:4 ; 8-byte Folded Spill
	v_add_f64 v[88:89], v[3:4], v[88:89]
	v_add_f64 v[5:6], v[3:4], v[15:16]
	;; [unrolled: 1-line block ×5, first 2 shown]
	v_mul_f64 v[90:91], v[132:133], s[36:37]
	v_fma_f64 v[13:14], v[45:46], s[24:25], v[74:75]
	scratch_store_b64 off, v[5:6], off offset:20 ; 8-byte Folded Spill
	v_add_f64 v[5:6], v[1:2], v[11:12]
	scratch_store_b64 off, v[5:6], off offset:52 ; 8-byte Folded Spill
	v_add_f64 v[5:6], v[3:4], v[92:93]
	v_mul_f64 v[92:93], v[130:131], s[36:37]
	scratch_store_b64 off, v[5:6], off offset:36 ; 8-byte Folded Spill
	v_add_f64 v[5:6], v[1:2], v[21:22]
	v_add_f64 v[21:22], v[1:2], v[63:64]
	v_mul_f64 v[63:64], v[132:133], s[30:31]
	scratch_store_b64 off, v[5:6], off offset:180 ; 8-byte Folded Spill
	v_add_f64 v[5:6], v[3:4], v[98:99]
	scratch_store_b64 off, v[5:6], off offset:172 ; 8-byte Folded Spill
	v_add_f64 v[5:6], v[1:2], v[23:24]
	v_add_f64 v[23:24], v[1:2], v[65:66]
	v_mul_f64 v[0:1], v[188:189], s[42:43]
	v_mul_f64 v[65:66], v[134:135], s[38:39]
	scratch_store_b64 off, v[5:6], off offset:196 ; 8-byte Folded Spill
	v_add_f64 v[5:6], v[3:4], v[80:81]
	scratch_store_b64 off, v[5:6], off offset:188 ; 8-byte Folded Spill
	v_add_f64 v[5:6], v[3:4], v[82:83]
	v_mul_f64 v[3:4], v[186:187], s[42:43]
	scratch_store_b64 off, v[0:1], off offset:68 ; 8-byte Folded Spill
	v_fma_f64 v[1:2], v[49:50], s[16:17], v[0:1]
	scratch_store_b64 off, v[5:6], off offset:204 ; 8-byte Folded Spill
	v_mul_f64 v[5:6], v[176:177], s[44:45]
	scratch_store_b64 off, v[3:4], off offset:84 ; 8-byte Folded Spill
	v_add_f64 v[1:2], v[1:2], v[19:20]
	v_fma_f64 v[3:4], v[51:52], s[16:17], -v[3:4]
	v_fma_f64 v[19:20], v[51:52], s[22:23], -v[218:219]
	scratch_store_b64 off, v[5:6], off offset:92 ; 8-byte Folded Spill
	v_fma_f64 v[11:12], v[45:46], s[26:27], v[5:6]
	v_mul_f64 v[5:6], v[174:175], s[44:45]
	v_add_f64 v[3:4], v[3:4], v[88:89]
	v_add_f64 v[19:20], v[19:20], v[190:191]
	v_mul_f64 v[190:191], v[186:187], s[52:53]
	v_add_f64 v[1:2], v[11:12], v[1:2]
	scratch_store_b64 off, v[5:6], off offset:108 ; 8-byte Folded Spill
	v_fma_f64 v[11:12], v[47:48], s[26:27], -v[5:6]
	v_mul_f64 v[5:6], v[168:169], s[40:41]
	s_delay_alu instid0(VALU_DEP_2) | instskip(SKIP_3) | instid1(VALU_DEP_2)
	v_add_f64 v[3:4], v[11:12], v[3:4]
	scratch_store_b64 off, v[5:6], off offset:116 ; 8-byte Folded Spill
	v_fma_f64 v[11:12], v[41:42], s[8:9], v[5:6]
	v_mul_f64 v[5:6], v[158:159], s[40:41]
	v_add_f64 v[1:2], v[11:12], v[1:2]
	scratch_store_b64 off, v[5:6], off offset:124 ; 8-byte Folded Spill
	v_fma_f64 v[11:12], v[43:44], s[8:9], -v[5:6]
	v_mul_f64 v[5:6], v[148:149], s[28:29]
	s_delay_alu instid0(VALU_DEP_2) | instskip(SKIP_3) | instid1(VALU_DEP_2)
	v_add_f64 v[3:4], v[11:12], v[3:4]
	scratch_store_b64 off, v[5:6], off offset:132 ; 8-byte Folded Spill
	v_fma_f64 v[11:12], v[37:38], s[20:21], v[5:6]
	;; [unrolled: 9-line block ×3, first 2 shown]
	v_mul_f64 v[5:6], v[138:139], s[30:31]
	v_add_f64 v[1:2], v[11:12], v[1:2]
	s_delay_alu instid0(VALU_DEP_2)
	v_fma_f64 v[11:12], v[31:32], s[24:25], -v[5:6]
	scratch_store_b64 off, v[5:6], off offset:156 ; 8-byte Folded Spill
	v_mul_f64 v[5:6], v[134:135], s[34:35]
	v_add_f64 v[3:4], v[11:12], v[3:4]
	v_fma_f64 v[11:12], v[33:34], s[6:7], v[67:68]
	scratch_store_b64 off, v[5:6], off offset:164 ; 8-byte Folded Spill
	v_add_f64 v[1:2], v[11:12], v[1:2]
	v_fma_f64 v[11:12], v[35:36], s[6:7], -v[5:6]
	v_mul_f64 v[6:7], v[138:139], s[42:43]
	s_delay_alu instid0(VALU_DEP_2) | instskip(SKIP_1) | instid1(VALU_DEP_1)
	v_add_f64 v[3:4], v[11:12], v[3:4]
	v_fma_f64 v[11:12], v[70:71], s[22:23], v[90:91]
	v_add_f64 v[106:107], v[11:12], v[1:2]
	v_fma_f64 v[11:12], v[72:73], s[22:23], -v[92:93]
	v_mul_f64 v[0:1], v[132:133], s[46:47]
	s_delay_alu instid0(VALU_DEP_2) | instskip(SKIP_3) | instid1(VALU_DEP_3)
	v_add_f64 v[108:109], v[11:12], v[3:4]
	v_fma_f64 v[11:12], v[49:50], s[8:9], v[102:103]
	v_mul_f64 v[4:5], v[136:137], s[36:37]
	v_mul_f64 v[2:3], v[134:135], s[36:37]
	v_add_f64 v[9:10], v[11:12], v[9:10]
	v_fma_f64 v[11:12], v[51:52], s[8:9], -v[104:105]
	s_delay_alu instid0(VALU_DEP_2) | instskip(NEXT) | instid1(VALU_DEP_2)
	v_add_f64 v[9:10], v[13:14], v[9:10]
	v_add_f64 v[11:12], v[11:12], v[15:16]
	v_fma_f64 v[13:14], v[47:48], s[24:25], -v[76:77]
	s_delay_alu instid0(VALU_DEP_1) | instskip(SKIP_1) | instid1(VALU_DEP_1)
	v_add_f64 v[11:12], v[13:14], v[11:12]
	v_fma_f64 v[13:14], v[41:42], s[22:23], v[110:111]
	v_add_f64 v[9:10], v[13:14], v[9:10]
	v_fma_f64 v[13:14], v[43:44], s[22:23], -v[112:113]
	s_delay_alu instid0(VALU_DEP_1) | instskip(SKIP_1) | instid1(VALU_DEP_1)
	v_add_f64 v[11:12], v[13:14], v[11:12]
	v_fma_f64 v[13:14], v[37:38], s[6:7], v[114:115]
	;; [unrolled: 5-line block ×5, first 2 shown]
	v_add_f64 v[86:87], v[13:14], v[9:10]
	v_fma_f64 v[13:14], v[72:73], s[10:11], -v[128:129]
	v_mul_f64 v[8:9], v[140:141], s[42:43]
	s_delay_alu instid0(VALU_DEP_2) | instskip(SKIP_2) | instid1(VALU_DEP_2)
	v_add_f64 v[88:89], v[13:14], v[11:12]
	v_fma_f64 v[13:14], v[49:50], s[24:25], v[144:145]
	v_fma_f64 v[10:11], v[33:34], s[10:11], v[61:62]
	v_add_f64 v[13:14], v[13:14], v[146:147]
	v_mul_f64 v[146:147], v[186:187], s[30:31]
	s_delay_alu instid0(VALU_DEP_1) | instskip(NEXT) | instid1(VALU_DEP_1)
	v_fma_f64 v[15:16], v[51:52], s[24:25], -v[146:147]
	v_add_f64 v[15:16], v[15:16], v[150:151]
	v_mul_f64 v[150:151], v[176:177], s[62:63]
	s_delay_alu instid0(VALU_DEP_1) | instskip(NEXT) | instid1(VALU_DEP_1)
	v_fma_f64 v[17:18], v[45:46], s[22:23], v[150:151]
	v_add_f64 v[13:14], v[17:18], v[13:14]
	v_fma_f64 v[17:18], v[47:48], s[22:23], -v[152:153]
	s_delay_alu instid0(VALU_DEP_1) | instskip(SKIP_1) | instid1(VALU_DEP_1)
	v_add_f64 v[15:16], v[17:18], v[15:16]
	v_fma_f64 v[17:18], v[41:42], s[20:21], v[154:155]
	v_add_f64 v[13:14], v[17:18], v[13:14]
	v_fma_f64 v[17:18], v[43:44], s[20:21], -v[156:157]
	s_delay_alu instid0(VALU_DEP_1) | instskip(SKIP_1) | instid1(VALU_DEP_1)
	v_add_f64 v[15:16], v[17:18], v[15:16]
	v_fma_f64 v[17:18], v[37:38], s[16:17], v[160:161]
	v_add_f64 v[13:14], v[17:18], v[13:14]
	v_fma_f64 v[17:18], v[39:40], s[16:17], -v[162:163]
	s_delay_alu instid0(VALU_DEP_1) | instskip(SKIP_1) | instid1(VALU_DEP_1)
	v_add_f64 v[15:16], v[17:18], v[15:16]
	v_fma_f64 v[17:18], v[29:30], s[10:11], v[164:165]
	v_add_f64 v[13:14], v[17:18], v[13:14]
	v_fma_f64 v[17:18], v[31:32], s[10:11], -v[166:167]
	s_delay_alu instid0(VALU_DEP_1) | instskip(SKIP_1) | instid1(VALU_DEP_1)
	v_add_f64 v[15:16], v[17:18], v[15:16]
	v_fma_f64 v[17:18], v[33:34], s[8:9], v[170:171]
	v_add_f64 v[13:14], v[17:18], v[13:14]
	v_fma_f64 v[17:18], v[35:36], s[8:9], -v[172:173]
	s_delay_alu instid0(VALU_DEP_1) | instskip(SKIP_1) | instid1(VALU_DEP_1)
	v_add_f64 v[15:16], v[17:18], v[15:16]
	v_fma_f64 v[17:18], v[70:71], s[6:7], v[178:179]
	v_add_f64 v[82:83], v[17:18], v[13:14]
	v_fma_f64 v[17:18], v[72:73], s[6:7], -v[180:181]
	v_mul_f64 v[12:13], v[148:149], s[54:55]
	s_delay_alu instid0(VALU_DEP_2) | instskip(SKIP_2) | instid1(VALU_DEP_2)
	v_add_f64 v[84:85], v[17:18], v[15:16]
	v_fma_f64 v[17:18], v[49:50], s[22:23], v[216:217]
	v_fma_f64 v[14:15], v[35:36], s[10:11], -v[65:66]
	v_add_f64 v[17:18], v[17:18], v[21:22]
	v_fma_f64 v[21:22], v[45:46], s[20:21], v[220:221]
	s_delay_alu instid0(VALU_DEP_1) | instskip(SKIP_1) | instid1(VALU_DEP_1)
	v_add_f64 v[17:18], v[21:22], v[17:18]
	v_fma_f64 v[21:22], v[47:48], s[20:21], -v[222:223]
	v_add_f64 v[19:20], v[21:22], v[19:20]
	v_fma_f64 v[21:22], v[41:42], s[10:11], v[224:225]
	s_delay_alu instid0(VALU_DEP_1) | instskip(SKIP_1) | instid1(VALU_DEP_1)
	v_add_f64 v[17:18], v[21:22], v[17:18]
	;; [unrolled: 5-line block ×5, first 2 shown]
	v_fma_f64 v[21:22], v[35:36], s[24:25], -v[238:239]
	v_add_f64 v[19:20], v[21:22], v[19:20]
	v_fma_f64 v[21:22], v[70:71], s[16:17], v[240:241]
	s_delay_alu instid0(VALU_DEP_1) | instskip(SKIP_2) | instid1(VALU_DEP_2)
	v_add_f64 v[78:79], v[21:22], v[17:18]
	v_fma_f64 v[21:22], v[72:73], s[16:17], -v[242:243]
	v_mul_f64 v[16:17], v[188:189], s[52:53]
	v_add_f64 v[80:81], v[21:22], v[19:20]
	v_fma_f64 v[21:22], v[49:50], s[6:7], v[244:245]
	v_fma_f64 v[18:19], v[70:71], s[24:25], v[63:64]
	s_delay_alu instid0(VALU_DEP_2) | instskip(SKIP_1) | instid1(VALU_DEP_2)
	v_add_f64 v[21:22], v[21:22], v[23:24]
	v_fma_f64 v[23:24], v[51:52], s[6:7], -v[246:247]
	v_add_f64 v[21:22], v[27:28], v[21:22]
	s_delay_alu instid0(VALU_DEP_2) | instskip(SKIP_2) | instid1(VALU_DEP_2)
	v_add_f64 v[23:24], v[23:24], v[192:193]
	v_fma_f64 v[27:28], v[47:48], s[16:17], -v[250:251]
	v_mul_f64 v[192:193], v[176:177], s[38:39]
	v_add_f64 v[23:24], v[27:28], v[23:24]
	v_fma_f64 v[27:28], v[41:42], s[26:27], v[252:253]
	s_delay_alu instid0(VALU_DEP_1) | instskip(SKIP_1) | instid1(VALU_DEP_1)
	v_add_f64 v[21:22], v[27:28], v[21:22]
	v_fma_f64 v[27:28], v[43:44], s[26:27], -v[254:255]
	v_add_f64 v[23:24], v[27:28], v[23:24]
	v_fma_f64 v[27:28], v[37:38], s[22:23], v[53:54]
	s_delay_alu instid0(VALU_DEP_1) | instskip(SKIP_1) | instid1(VALU_DEP_1)
	v_add_f64 v[21:22], v[27:28], v[21:22]
	v_fma_f64 v[27:28], v[39:40], s[22:23], -v[55:56]
	v_add_f64 v[23:24], v[27:28], v[23:24]
	v_fma_f64 v[27:28], v[29:30], s[8:9], v[57:58]
	s_delay_alu instid0(VALU_DEP_1) | instskip(SKIP_1) | instid1(VALU_DEP_2)
	v_add_f64 v[21:22], v[27:28], v[21:22]
	v_fma_f64 v[27:28], v[31:32], s[8:9], -v[59:60]
	v_add_f64 v[10:11], v[10:11], v[21:22]
	s_delay_alu instid0(VALU_DEP_2) | instskip(SKIP_2) | instid1(VALU_DEP_4)
	v_add_f64 v[23:24], v[27:28], v[23:24]
	v_mul_f64 v[20:21], v[130:131], s[30:31]
	v_fma_f64 v[27:28], v[45:46], s[10:11], v[192:193]
	v_add_f64 v[212:213], v[18:19], v[10:11]
	s_delay_alu instid0(VALU_DEP_4) | instskip(NEXT) | instid1(VALU_DEP_4)
	v_add_f64 v[14:15], v[14:15], v[23:24]
	v_fma_f64 v[18:19], v[72:73], s[24:25], -v[20:21]
	v_mul_f64 v[10:11], v[142:143], s[54:55]
	s_delay_alu instid0(VALU_DEP_2) | instskip(SKIP_3) | instid1(VALU_DEP_3)
	v_add_f64 v[214:215], v[18:19], v[14:15]
	v_fma_f64 v[18:19], v[49:50], s[20:21], v[16:17]
	v_mul_f64 v[14:15], v[168:169], s[34:35]
	v_fma_f64 v[16:17], v[49:50], s[20:21], -v[16:17]
	v_add_f64 v[18:19], v[18:19], v[25:26]
	v_fma_f64 v[25:26], v[51:52], s[20:21], -v[190:191]
	s_delay_alu instid0(VALU_DEP_4) | instskip(NEXT) | instid1(VALU_DEP_4)
	v_fma_f64 v[22:23], v[41:42], s[6:7], v[14:15]
	v_add_f64 v[16:17], v[16:17], v[196:197]
	v_fma_f64 v[14:15], v[41:42], s[6:7], -v[14:15]
	v_add_f64 v[18:19], v[27:28], v[18:19]
	v_add_f64 v[25:26], v[25:26], v[194:195]
	v_mul_f64 v[194:195], v[174:175], s[38:39]
	s_delay_alu instid0(VALU_DEP_3) | instskip(SKIP_1) | instid1(VALU_DEP_3)
	v_add_f64 v[18:19], v[22:23], v[18:19]
	v_mul_f64 v[22:23], v[158:159], s[34:35]
	v_fma_f64 v[27:28], v[47:48], s[10:11], -v[194:195]
	s_delay_alu instid0(VALU_DEP_1) | instskip(NEXT) | instid1(VALU_DEP_3)
	v_add_f64 v[25:26], v[27:28], v[25:26]
	v_fma_f64 v[27:28], v[43:44], s[6:7], -v[22:23]
	s_delay_alu instid0(VALU_DEP_1) | instskip(SKIP_2) | instid1(VALU_DEP_2)
	v_add_f64 v[24:25], v[27:28], v[25:26]
	v_fma_f64 v[26:27], v[37:38], s[8:9], v[12:13]
	v_fma_f64 v[12:13], v[37:38], s[8:9], -v[12:13]
	v_add_f64 v[18:19], v[26:27], v[18:19]
	v_fma_f64 v[26:27], v[39:40], s[8:9], -v[10:11]
	v_fma_f64 v[10:11], v[39:40], s[8:9], v[10:11]
	s_delay_alu instid0(VALU_DEP_2) | instskip(SKIP_2) | instid1(VALU_DEP_2)
	v_add_f64 v[24:25], v[26:27], v[24:25]
	v_fma_f64 v[26:27], v[29:30], s[16:17], v[8:9]
	v_fma_f64 v[8:9], v[29:30], s[16:17], -v[8:9]
	v_add_f64 v[18:19], v[26:27], v[18:19]
	v_fma_f64 v[26:27], v[31:32], s[16:17], -v[6:7]
	v_fma_f64 v[6:7], v[31:32], s[16:17], v[6:7]
	s_delay_alu instid0(VALU_DEP_2) | instskip(SKIP_2) | instid1(VALU_DEP_2)
	;; [unrolled: 7-line block ×3, first 2 shown]
	v_add_f64 v[27:28], v[26:27], v[24:25]
	v_fma_f64 v[24:25], v[70:71], s[26:27], v[0:1]
	v_fma_f64 v[0:1], v[70:71], s[26:27], -v[0:1]
	v_add_f64 v[25:26], v[24:25], v[18:19]
	v_mul_f64 v[18:19], v[130:131], s[46:47]
	s_delay_alu instid0(VALU_DEP_1) | instskip(NEXT) | instid1(VALU_DEP_1)
	v_fma_f64 v[98:99], v[72:73], s[26:27], -v[18:19]
	v_add_f64 v[27:28], v[98:99], v[27:28]
	v_fma_f64 v[98:99], v[51:52], s[20:21], v[190:191]
	v_fma_f64 v[190:191], v[45:46], s[10:11], -v[192:193]
	s_delay_alu instid0(VALU_DEP_2) | instskip(NEXT) | instid1(VALU_DEP_2)
	v_add_f64 v[98:99], v[98:99], v[198:199]
	v_add_f64 v[16:17], v[190:191], v[16:17]
	v_fma_f64 v[190:191], v[47:48], s[10:11], v[194:195]
	v_mul_f64 v[198:199], v[136:137], s[50:51]
	v_mul_f64 v[136:137], v[136:137], s[28:29]
	s_delay_alu instid0(VALU_DEP_4) | instskip(NEXT) | instid1(VALU_DEP_4)
	v_add_f64 v[14:15], v[14:15], v[16:17]
	v_add_f64 v[98:99], v[190:191], v[98:99]
	v_fma_f64 v[16:17], v[43:44], s[6:7], v[22:23]
	s_delay_alu instid0(VALU_DEP_3) | instskip(NEXT) | instid1(VALU_DEP_2)
	v_add_f64 v[12:13], v[12:13], v[14:15]
	v_add_f64 v[16:17], v[16:17], v[98:99]
	s_delay_alu instid0(VALU_DEP_2) | instskip(NEXT) | instid1(VALU_DEP_2)
	v_add_f64 v[8:9], v[8:9], v[12:13]
	v_add_f64 v[10:11], v[10:11], v[16:17]
	s_delay_alu instid0(VALU_DEP_2) | instskip(SKIP_1) | instid1(VALU_DEP_3)
	v_add_f64 v[4:5], v[4:5], v[8:9]
	v_mul_f64 v[8:9], v[176:177], s[40:41]
	v_add_f64 v[6:7], v[6:7], v[10:11]
	s_delay_alu instid0(VALU_DEP_3) | instskip(SKIP_1) | instid1(VALU_DEP_3)
	v_add_f64 v[190:191], v[0:1], v[4:5]
	v_mul_f64 v[0:1], v[188:189], s[46:47]
	v_add_f64 v[2:3], v[2:3], v[6:7]
	v_fma_f64 v[6:7], v[72:73], s[26:27], v[18:19]
	v_mul_f64 v[4:5], v[186:187], s[46:47]
	v_fma_f64 v[10:11], v[45:46], s[8:9], v[8:9]
	s_delay_alu instid0(VALU_DEP_3) | instskip(SKIP_1) | instid1(VALU_DEP_4)
	v_add_f64 v[192:193], v[6:7], v[2:3]
	v_fma_f64 v[2:3], v[49:50], s[26:27], v[0:1]
	v_fma_f64 v[6:7], v[51:52], s[26:27], -v[4:5]
	v_fma_f64 v[0:1], v[49:50], s[26:27], -v[0:1]
	v_fma_f64 v[4:5], v[51:52], s[26:27], v[4:5]
	s_delay_alu instid0(VALU_DEP_4) | instskip(NEXT) | instid1(VALU_DEP_4)
	v_add_f64 v[2:3], v[2:3], v[200:201]
	v_add_f64 v[6:7], v[6:7], v[202:203]
	v_mul_f64 v[200:201], v[134:135], s[50:51]
	v_mul_f64 v[202:203], v[132:133], s[28:29]
	v_add_f64 v[0:1], v[0:1], v[204:205]
	v_add_f64 v[4:5], v[4:5], v[206:207]
	v_mul_f64 v[134:135], v[134:135], s[28:29]
	v_add_f64 v[2:3], v[10:11], v[2:3]
	v_mul_f64 v[10:11], v[174:175], s[40:41]
	s_delay_alu instid0(VALU_DEP_1) | instskip(NEXT) | instid1(VALU_DEP_1)
	v_fma_f64 v[12:13], v[47:48], s[8:9], -v[10:11]
	v_add_f64 v[6:7], v[12:13], v[6:7]
	v_mul_f64 v[12:13], v[168:169], s[58:59]
	s_delay_alu instid0(VALU_DEP_1) | instskip(NEXT) | instid1(VALU_DEP_1)
	v_fma_f64 v[14:15], v[41:42], s[24:25], v[12:13]
	v_add_f64 v[2:3], v[14:15], v[2:3]
	v_mul_f64 v[14:15], v[158:159], s[58:59]
	s_delay_alu instid0(VALU_DEP_1) | instskip(NEXT) | instid1(VALU_DEP_1)
	v_fma_f64 v[16:17], v[43:44], s[24:25], -v[14:15]
	v_add_f64 v[6:7], v[16:17], v[6:7]
	v_mul_f64 v[16:17], v[148:149], s[38:39]
	s_delay_alu instid0(VALU_DEP_1) | instskip(NEXT) | instid1(VALU_DEP_1)
	v_fma_f64 v[18:19], v[37:38], s[10:11], v[16:17]
	;; [unrolled: 8-line block ×3, first 2 shown]
	v_add_f64 v[2:3], v[98:99], v[2:3]
	v_mul_f64 v[98:99], v[138:139], s[36:37]
	s_delay_alu instid0(VALU_DEP_1) | instskip(NEXT) | instid1(VALU_DEP_1)
	v_fma_f64 v[194:195], v[31:32], s[22:23], -v[98:99]
	v_add_f64 v[6:7], v[194:195], v[6:7]
	v_fma_f64 v[194:195], v[33:34], s[16:17], v[198:199]
	s_delay_alu instid0(VALU_DEP_1) | instskip(SKIP_1) | instid1(VALU_DEP_1)
	v_add_f64 v[2:3], v[194:195], v[2:3]
	v_fma_f64 v[194:195], v[35:36], s[16:17], -v[200:201]
	v_add_f64 v[6:7], v[194:195], v[6:7]
	v_fma_f64 v[194:195], v[70:71], s[20:21], v[202:203]
	s_delay_alu instid0(VALU_DEP_1) | instskip(SKIP_1) | instid1(VALU_DEP_1)
	v_add_f64 v[194:195], v[194:195], v[2:3]
	v_mul_f64 v[2:3], v[130:131], s[28:29]
	v_fma_f64 v[196:197], v[72:73], s[20:21], -v[2:3]
	v_fma_f64 v[2:3], v[72:73], s[20:21], v[2:3]
	s_delay_alu instid0(VALU_DEP_2) | instskip(SKIP_2) | instid1(VALU_DEP_2)
	v_add_f64 v[196:197], v[196:197], v[6:7]
	v_fma_f64 v[6:7], v[45:46], s[8:9], -v[8:9]
	v_mul_f64 v[8:9], v[176:177], s[34:35]
	v_add_f64 v[0:1], v[6:7], v[0:1]
	v_fma_f64 v[6:7], v[47:48], s[8:9], v[10:11]
	s_delay_alu instid0(VALU_DEP_3) | instskip(NEXT) | instid1(VALU_DEP_2)
	v_fma_f64 v[10:11], v[45:46], s[6:7], v[8:9]
	v_add_f64 v[4:5], v[6:7], v[4:5]
	v_fma_f64 v[6:7], v[41:42], s[24:25], -v[12:13]
	s_delay_alu instid0(VALU_DEP_1) | instskip(SKIP_1) | instid1(VALU_DEP_1)
	v_add_f64 v[0:1], v[6:7], v[0:1]
	v_fma_f64 v[6:7], v[43:44], s[24:25], v[14:15]
	v_add_f64 v[4:5], v[6:7], v[4:5]
	v_fma_f64 v[6:7], v[37:38], s[10:11], -v[16:17]
	s_delay_alu instid0(VALU_DEP_1) | instskip(SKIP_1) | instid1(VALU_DEP_1)
	v_add_f64 v[0:1], v[6:7], v[0:1]
	;; [unrolled: 5-line block ×4, first 2 shown]
	v_fma_f64 v[6:7], v[35:36], s[16:17], v[200:201]
	v_add_f64 v[4:5], v[6:7], v[4:5]
	v_fma_f64 v[6:7], v[70:71], s[20:21], -v[202:203]
	s_delay_alu instid0(VALU_DEP_2) | instskip(NEXT) | instid1(VALU_DEP_2)
	v_add_f64 v[200:201], v[2:3], v[4:5]
	v_add_f64 v[198:199], v[6:7], v[0:1]
	v_mul_f64 v[0:1], v[188:189], s[48:49]
	v_mul_f64 v[4:5], v[186:187], s[48:49]
	s_delay_alu instid0(VALU_DEP_2) | instskip(NEXT) | instid1(VALU_DEP_2)
	v_fma_f64 v[2:3], v[49:50], s[10:11], v[0:1]
	v_fma_f64 v[6:7], v[51:52], s[10:11], -v[4:5]
	v_fma_f64 v[0:1], v[49:50], s[10:11], -v[0:1]
	s_delay_alu instid0(VALU_DEP_3) | instskip(NEXT) | instid1(VALU_DEP_3)
	v_add_f64 v[2:3], v[2:3], v[208:209]
	v_add_f64 v[6:7], v[6:7], v[210:211]
	s_delay_alu instid0(VALU_DEP_3) | instskip(NEXT) | instid1(VALU_DEP_3)
	v_add_f64 v[0:1], v[0:1], v[94:95]
	v_add_f64 v[2:3], v[10:11], v[2:3]
	v_mul_f64 v[10:11], v[174:175], s[34:35]
	s_delay_alu instid0(VALU_DEP_1) | instskip(NEXT) | instid1(VALU_DEP_1)
	v_fma_f64 v[12:13], v[47:48], s[6:7], -v[10:11]
	v_add_f64 v[6:7], v[12:13], v[6:7]
	v_mul_f64 v[12:13], v[168:169], s[50:51]
	s_delay_alu instid0(VALU_DEP_1) | instskip(NEXT) | instid1(VALU_DEP_1)
	v_fma_f64 v[14:15], v[41:42], s[16:17], v[12:13]
	v_add_f64 v[2:3], v[14:15], v[2:3]
	v_mul_f64 v[14:15], v[158:159], s[50:51]
	s_delay_alu instid0(VALU_DEP_1) | instskip(NEXT) | instid1(VALU_DEP_1)
	v_fma_f64 v[16:17], v[43:44], s[16:17], -v[14:15]
	v_add_f64 v[6:7], v[16:17], v[6:7]
	v_mul_f64 v[16:17], v[148:149], s[30:31]
	s_delay_alu instid0(VALU_DEP_1) | instskip(NEXT) | instid1(VALU_DEP_1)
	v_fma_f64 v[18:19], v[37:38], s[24:25], v[16:17]
	v_add_f64 v[2:3], v[18:19], v[2:3]
	v_mul_f64 v[18:19], v[142:143], s[30:31]
	s_delay_alu instid0(VALU_DEP_1) | instskip(NEXT) | instid1(VALU_DEP_1)
	v_fma_f64 v[22:23], v[39:40], s[24:25], -v[18:19]
	v_add_f64 v[6:7], v[22:23], v[6:7]
	v_mul_f64 v[22:23], v[140:141], s[46:47]
	v_mul_f64 v[140:141], v[130:131], s[54:55]
	s_delay_alu instid0(VALU_DEP_2) | instskip(NEXT) | instid1(VALU_DEP_1)
	v_fma_f64 v[98:99], v[29:30], s[26:27], v[22:23]
	v_add_f64 v[2:3], v[98:99], v[2:3]
	v_mul_f64 v[98:99], v[138:139], s[46:47]
	s_delay_alu instid0(VALU_DEP_1) | instskip(NEXT) | instid1(VALU_DEP_1)
	v_fma_f64 v[138:139], v[31:32], s[26:27], -v[98:99]
	v_add_f64 v[6:7], v[138:139], v[6:7]
	v_fma_f64 v[138:139], v[33:34], s[20:21], v[136:137]
	s_delay_alu instid0(VALU_DEP_1) | instskip(SKIP_1) | instid1(VALU_DEP_1)
	v_add_f64 v[2:3], v[138:139], v[2:3]
	v_fma_f64 v[138:139], v[35:36], s[20:21], -v[134:135]
	v_add_f64 v[6:7], v[138:139], v[6:7]
	v_mul_f64 v[138:139], v[132:133], s[54:55]
	s_delay_alu instid0(VALU_DEP_1) | instskip(NEXT) | instid1(VALU_DEP_1)
	v_fma_f64 v[130:131], v[70:71], s[8:9], v[138:139]
	v_add_f64 v[130:131], v[130:131], v[2:3]
	v_fma_f64 v[2:3], v[72:73], s[8:9], -v[140:141]
	s_delay_alu instid0(VALU_DEP_1) | instskip(SKIP_3) | instid1(VALU_DEP_3)
	v_add_f64 v[132:133], v[2:3], v[6:7]
	v_fma_f64 v[2:3], v[51:52], s[10:11], v[4:5]
	v_fma_f64 v[4:5], v[45:46], s[6:7], -v[8:9]
	v_fma_f64 v[6:7], v[72:73], s[8:9], v[140:141]
	v_add_f64 v[2:3], v[2:3], v[96:97]
	s_delay_alu instid0(VALU_DEP_3) | instskip(SKIP_1) | instid1(VALU_DEP_1)
	v_add_f64 v[0:1], v[4:5], v[0:1]
	v_fma_f64 v[4:5], v[47:48], s[6:7], v[10:11]
	v_add_f64 v[2:3], v[4:5], v[2:3]
	v_fma_f64 v[4:5], v[41:42], s[16:17], -v[12:13]
	s_delay_alu instid0(VALU_DEP_1) | instskip(SKIP_1) | instid1(VALU_DEP_1)
	v_add_f64 v[0:1], v[4:5], v[0:1]
	v_fma_f64 v[4:5], v[43:44], s[16:17], v[14:15]
	v_add_f64 v[2:3], v[4:5], v[2:3]
	v_fma_f64 v[4:5], v[37:38], s[24:25], -v[16:17]
	s_delay_alu instid0(VALU_DEP_1) | instskip(SKIP_1) | instid1(VALU_DEP_1)
	;; [unrolled: 5-line block ×4, first 2 shown]
	v_add_f64 v[0:1], v[4:5], v[0:1]
	v_fma_f64 v[4:5], v[35:36], s[20:21], v[134:135]
	v_add_f64 v[2:3], v[4:5], v[2:3]
	v_fma_f64 v[4:5], v[70:71], s[8:9], -v[138:139]
	s_delay_alu instid0(VALU_DEP_2) | instskip(NEXT) | instid1(VALU_DEP_2)
	v_add_f64 v[136:137], v[6:7], v[2:3]
	v_add_f64 v[134:135], v[4:5], v[0:1]
	scratch_load_b64 v[4:5], off, off offset:204 ; 8-byte Folded Reload
	v_fma_f64 v[0:1], v[49:50], s[6:7], -v[244:245]
	v_fma_f64 v[2:3], v[51:52], s[6:7], v[246:247]
	v_fma_f64 v[6:7], v[72:73], s[24:25], v[20:21]
	s_delay_alu instid0(VALU_DEP_3) | instskip(SKIP_1) | instid1(VALU_DEP_3)
	v_add_f64 v[0:1], v[0:1], v[100:101]
	s_waitcnt vmcnt(0)
	v_add_f64 v[2:3], v[2:3], v[4:5]
	v_fma_f64 v[4:5], v[45:46], s[16:17], -v[248:249]
	s_delay_alu instid0(VALU_DEP_1) | instskip(SKIP_1) | instid1(VALU_DEP_1)
	v_add_f64 v[0:1], v[4:5], v[0:1]
	v_fma_f64 v[4:5], v[47:48], s[16:17], v[250:251]
	v_add_f64 v[2:3], v[4:5], v[2:3]
	v_fma_f64 v[4:5], v[41:42], s[26:27], -v[252:253]
	s_delay_alu instid0(VALU_DEP_1) | instskip(SKIP_1) | instid1(VALU_DEP_1)
	v_add_f64 v[0:1], v[4:5], v[0:1]
	v_fma_f64 v[4:5], v[43:44], s[26:27], v[254:255]
	v_add_f64 v[2:3], v[4:5], v[2:3]
	v_fma_f64 v[4:5], v[37:38], s[22:23], -v[53:54]
	s_delay_alu instid0(VALU_DEP_1) | instskip(SKIP_1) | instid1(VALU_DEP_1)
	v_add_f64 v[0:1], v[4:5], v[0:1]
	v_fma_f64 v[4:5], v[39:40], s[22:23], v[55:56]
	v_add_f64 v[2:3], v[4:5], v[2:3]
	v_fma_f64 v[4:5], v[29:30], s[8:9], -v[57:58]
	s_delay_alu instid0(VALU_DEP_1) | instskip(SKIP_1) | instid1(VALU_DEP_1)
	v_add_f64 v[0:1], v[4:5], v[0:1]
	v_fma_f64 v[4:5], v[31:32], s[8:9], v[59:60]
	v_add_f64 v[2:3], v[4:5], v[2:3]
	v_fma_f64 v[4:5], v[33:34], s[10:11], -v[61:62]
	s_delay_alu instid0(VALU_DEP_1) | instskip(SKIP_1) | instid1(VALU_DEP_1)
	v_add_f64 v[0:1], v[4:5], v[0:1]
	v_fma_f64 v[4:5], v[35:36], s[10:11], v[65:66]
	v_add_f64 v[2:3], v[4:5], v[2:3]
	v_fma_f64 v[4:5], v[70:71], s[24:25], -v[63:64]
	s_delay_alu instid0(VALU_DEP_2)
	v_add_f64 v[140:141], v[6:7], v[2:3]
	scratch_load_b64 v[2:3], off, off offset:196 ; 8-byte Folded Reload
	v_add_f64 v[138:139], v[4:5], v[0:1]
	scratch_load_b64 v[4:5], off, off offset:188 ; 8-byte Folded Reload
	v_fma_f64 v[0:1], v[49:50], s[22:23], -v[216:217]
	v_fma_f64 v[6:7], v[72:73], s[16:17], v[242:243]
	s_waitcnt vmcnt(1)
	s_delay_alu instid0(VALU_DEP_2) | instskip(SKIP_2) | instid1(VALU_DEP_1)
	v_add_f64 v[0:1], v[0:1], v[2:3]
	v_fma_f64 v[2:3], v[51:52], s[22:23], v[218:219]
	s_waitcnt vmcnt(0)
	v_add_f64 v[2:3], v[2:3], v[4:5]
	v_fma_f64 v[4:5], v[45:46], s[20:21], -v[220:221]
	s_delay_alu instid0(VALU_DEP_1) | instskip(SKIP_1) | instid1(VALU_DEP_1)
	v_add_f64 v[0:1], v[4:5], v[0:1]
	v_fma_f64 v[4:5], v[47:48], s[20:21], v[222:223]
	v_add_f64 v[2:3], v[4:5], v[2:3]
	v_fma_f64 v[4:5], v[41:42], s[10:11], -v[224:225]
	s_delay_alu instid0(VALU_DEP_1) | instskip(SKIP_1) | instid1(VALU_DEP_1)
	v_add_f64 v[0:1], v[4:5], v[0:1]
	v_fma_f64 v[4:5], v[43:44], s[10:11], v[226:227]
	v_add_f64 v[2:3], v[4:5], v[2:3]
	v_fma_f64 v[4:5], v[37:38], s[26:27], -v[228:229]
	s_delay_alu instid0(VALU_DEP_1) | instskip(SKIP_1) | instid1(VALU_DEP_1)
	v_add_f64 v[0:1], v[4:5], v[0:1]
	v_fma_f64 v[4:5], v[39:40], s[26:27], v[230:231]
	v_add_f64 v[2:3], v[4:5], v[2:3]
	v_fma_f64 v[4:5], v[29:30], s[6:7], -v[232:233]
	s_delay_alu instid0(VALU_DEP_1) | instskip(SKIP_1) | instid1(VALU_DEP_1)
	v_add_f64 v[0:1], v[4:5], v[0:1]
	v_fma_f64 v[4:5], v[31:32], s[6:7], v[234:235]
	v_add_f64 v[2:3], v[4:5], v[2:3]
	v_fma_f64 v[4:5], v[33:34], s[24:25], -v[236:237]
	s_delay_alu instid0(VALU_DEP_1) | instskip(SKIP_1) | instid1(VALU_DEP_1)
	v_add_f64 v[0:1], v[4:5], v[0:1]
	v_fma_f64 v[4:5], v[35:36], s[24:25], v[238:239]
	v_add_f64 v[2:3], v[4:5], v[2:3]
	v_fma_f64 v[4:5], v[70:71], s[16:17], -v[240:241]
	s_delay_alu instid0(VALU_DEP_2)
	v_add_f64 v[100:101], v[6:7], v[2:3]
	scratch_load_b64 v[2:3], off, off offset:180 ; 8-byte Folded Reload
	v_add_f64 v[98:99], v[4:5], v[0:1]
	scratch_load_b64 v[4:5], off, off offset:172 ; 8-byte Folded Reload
	v_fma_f64 v[0:1], v[49:50], s[24:25], -v[144:145]
	v_fma_f64 v[6:7], v[72:73], s[6:7], v[180:181]
	s_waitcnt vmcnt(1)
	s_delay_alu instid0(VALU_DEP_2) | instskip(SKIP_2) | instid1(VALU_DEP_1)
	v_add_f64 v[0:1], v[0:1], v[2:3]
	v_fma_f64 v[2:3], v[51:52], s[24:25], v[146:147]
	;; [unrolled: 39-line block ×3, first 2 shown]
	s_waitcnt vmcnt(0)
	v_add_f64 v[2:3], v[2:3], v[4:5]
	v_fma_f64 v[4:5], v[45:46], s[24:25], -v[74:75]
	s_delay_alu instid0(VALU_DEP_1) | instskip(SKIP_1) | instid1(VALU_DEP_1)
	v_add_f64 v[0:1], v[4:5], v[0:1]
	v_fma_f64 v[4:5], v[47:48], s[24:25], v[76:77]
	v_add_f64 v[2:3], v[4:5], v[2:3]
	v_fma_f64 v[4:5], v[41:42], s[22:23], -v[110:111]
	s_delay_alu instid0(VALU_DEP_1) | instskip(SKIP_1) | instid1(VALU_DEP_1)
	v_add_f64 v[0:1], v[4:5], v[0:1]
	v_fma_f64 v[4:5], v[43:44], s[22:23], v[112:113]
	;; [unrolled: 5-line block ×5, first 2 shown]
	v_add_f64 v[2:3], v[4:5], v[2:3]
	v_fma_f64 v[4:5], v[70:71], s[10:11], -v[126:127]
	s_delay_alu instid0(VALU_DEP_2) | instskip(NEXT) | instid1(VALU_DEP_2)
	v_add_f64 v[104:105], v[6:7], v[2:3]
	v_add_f64 v[102:103], v[4:5], v[0:1]
	s_clause 0x3
	scratch_load_b64 v[0:1], off, off offset:68
	scratch_load_b64 v[4:5], off, off offset:4
	;; [unrolled: 1-line block ×4, first 2 shown]
	s_waitcnt vmcnt(3)
	v_fma_f64 v[0:1], v[49:50], s[16:17], -v[0:1]
	s_waitcnt vmcnt(2)
	s_delay_alu instid0(VALU_DEP_1) | instskip(SKIP_4) | instid1(VALU_DEP_1)
	v_add_f64 v[0:1], v[0:1], v[4:5]
	scratch_load_b64 v[4:5], off, off offset:20 ; 8-byte Folded Reload
	s_waitcnt vmcnt(2)
	v_fma_f64 v[2:3], v[51:52], s[16:17], v[2:3]
	s_waitcnt vmcnt(0)
	v_add_f64 v[2:3], v[2:3], v[4:5]
	scratch_load_b64 v[4:5], off, off offset:92 ; 8-byte Folded Reload
	s_waitcnt vmcnt(0)
	v_fma_f64 v[4:5], v[45:46], s[26:27], -v[4:5]
	s_delay_alu instid0(VALU_DEP_1) | instskip(SKIP_3) | instid1(VALU_DEP_1)
	v_add_f64 v[0:1], v[4:5], v[0:1]
	scratch_load_b64 v[4:5], off, off offset:116 ; 8-byte Folded Reload
	s_waitcnt vmcnt(0)
	v_fma_f64 v[4:5], v[41:42], s[8:9], -v[4:5]
	v_add_f64 v[0:1], v[4:5], v[0:1]
	scratch_load_b64 v[4:5], off, off offset:132 ; 8-byte Folded Reload
	s_waitcnt vmcnt(0)
	v_fma_f64 v[4:5], v[37:38], s[20:21], -v[4:5]
	s_delay_alu instid0(VALU_DEP_1) | instskip(SKIP_3) | instid1(VALU_DEP_1)
	v_add_f64 v[0:1], v[4:5], v[0:1]
	scratch_load_b64 v[4:5], off, off offset:148 ; 8-byte Folded Reload
	s_waitcnt vmcnt(0)
	v_fma_f64 v[4:5], v[29:30], s[24:25], -v[4:5]
	v_add_f64 v[0:1], v[4:5], v[0:1]
	v_fma_f64 v[4:5], v[33:34], s[6:7], -v[67:68]
	s_delay_alu instid0(VALU_DEP_1) | instskip(SKIP_1) | instid1(VALU_DEP_1)
	v_add_f64 v[0:1], v[4:5], v[0:1]
	v_fma_f64 v[4:5], v[70:71], s[22:23], -v[90:91]
	v_add_f64 v[29:30], v[4:5], v[0:1]
	scratch_load_b32 v1, off, off           ; 4-byte Folded Reload
	v_fma_f64 v[6:7], v[47:48], s[26:27], v[6:7]
	v_mul_u32_u24_e32 v0, 0x770, v69
	s_delay_alu instid0(VALU_DEP_2) | instskip(SKIP_3) | instid1(VALU_DEP_1)
	v_add_f64 v[2:3], v[6:7], v[2:3]
	scratch_load_b64 v[6:7], off, off offset:124 ; 8-byte Folded Reload
	s_waitcnt vmcnt(1)
	v_lshlrev_b32_e32 v49, 4, v1
	v_add3_u32 v0, 0, v0, v49
	ds_store_b128 v0, v[182:185]
	s_waitcnt vmcnt(0)
	v_fma_f64 v[6:7], v[43:44], s[8:9], v[6:7]
	s_delay_alu instid0(VALU_DEP_1) | instskip(SKIP_3) | instid1(VALU_DEP_1)
	v_add_f64 v[2:3], v[6:7], v[2:3]
	scratch_load_b64 v[6:7], off, off offset:140 ; 8-byte Folded Reload
	s_waitcnt vmcnt(0)
	v_fma_f64 v[6:7], v[39:40], s[20:21], v[6:7]
	v_add_f64 v[2:3], v[6:7], v[2:3]
	scratch_load_b64 v[6:7], off, off offset:156 ; 8-byte Folded Reload
	s_waitcnt vmcnt(0)
	v_fma_f64 v[6:7], v[31:32], s[24:25], v[6:7]
	s_delay_alu instid0(VALU_DEP_1) | instskip(SKIP_3) | instid1(VALU_DEP_1)
	v_add_f64 v[2:3], v[6:7], v[2:3]
	scratch_load_b64 v[6:7], off, off offset:164 ; 8-byte Folded Reload
	s_waitcnt vmcnt(0)
	v_fma_f64 v[6:7], v[35:36], s[6:7], v[6:7]
	v_add_f64 v[2:3], v[6:7], v[2:3]
	v_fma_f64 v[6:7], v[72:73], s[22:23], v[92:93]
	s_delay_alu instid0(VALU_DEP_1)
	v_add_f64 v[31:32], v[6:7], v[2:3]
	ds_store_b128 v0, v[106:109] offset:112
	ds_store_b128 v0, v[86:89] offset:224
	;; [unrolled: 1-line block ×16, first 2 shown]
	s_waitcnt lgkmcnt(0)
	s_waitcnt_vscnt null, 0x0
	s_barrier
	buffer_gl0_inv
	s_and_saveexec_b32 s33, s3
	s_cbranch_execz .LBB0_50
; %bb.49:
	scratch_load_b64 v[80:81], off, off offset:216 ; 8-byte Folded Reload
	v_mul_hi_u32 v0, 0xf0f0f10, v69
	s_add_i32 s3, 0, 0x7e70
	s_delay_alu instid0(VALU_DEP_1) | instskip(NEXT) | instid1(VALU_DEP_1)
	v_mul_u32_u24_e32 v0, 17, v0
	v_sub_nc_u32_e32 v82, v69, v0
	s_delay_alu instid0(VALU_DEP_1) | instskip(SKIP_1) | instid1(VALU_DEP_1)
	v_add_nc_u32_e32 v0, 0x110, v82
	s_waitcnt vmcnt(0)
	v_mul_lo_u32 v9, v0, v80
	v_mul_lo_u32 v50, 0xffffffef, v80
	s_delay_alu instid0(VALU_DEP_2) | instskip(SKIP_1) | instid1(VALU_DEP_3)
	v_lshrrev_b32_e32 v0, 1, v9
	v_and_b32_e32 v1, 31, v9
	v_add_nc_u32_e32 v10, v9, v50
	s_delay_alu instid0(VALU_DEP_3) | instskip(NEXT) | instid1(VALU_DEP_3)
	v_and_b32_e32 v0, 0x1f0, v0
	v_lshl_add_u32 v5, v1, 4, 0
	s_delay_alu instid0(VALU_DEP_3)
	v_lshrrev_b32_e32 v11, 6, v10
	v_and_b32_e32 v12, 31, v10
	v_add_nc_u32_e32 v17, v10, v50
	v_add_nc_u32_e32 v0, s3, v0
	ds_load_b128 v[1:4], v0 offset:512
	ds_load_b128 v[5:8], v5 offset:32368
	v_lshrrev_b32_e32 v0, 6, v9
	v_lshrrev_b32_e32 v9, 1, v10
	v_and_b32_e32 v11, 0x1f0, v11
	v_lshl_add_u32 v12, v12, 4, 0
	v_and_b32_e32 v19, 31, v17
	v_and_b32_e32 v0, 0x1f0, v0
	;; [unrolled: 1-line block ×3, first 2 shown]
	v_add_nc_u32_e32 v11, s3, v11
	v_add_nc_u32_e32 v18, v17, v50
	v_lshl_add_u32 v19, v19, 4, 0
	v_add_nc_u32_e32 v0, s3, v0
	v_add_nc_u32_e32 v9, s3, v9
	ds_load_b128 v[13:16], v0 offset:1024
	ds_load_b128 v[25:28], v12 offset:32368
	;; [unrolled: 1-line block ×4, first 2 shown]
	v_lshrrev_b32_e32 v0, 1, v17
	v_lshrrev_b32_e32 v20, 1, v18
	v_and_b32_e32 v21, 31, v18
	s_waitcnt lgkmcnt(4)
	v_mul_f64 v[51:52], v[7:8], v[3:4]
	v_mul_f64 v[3:4], v[5:6], v[3:4]
	v_and_b32_e32 v0, 0x1f0, v0
	v_add_nc_u32_e32 v65, v18, v50
	v_and_b32_e32 v20, 0x1f0, v20
	v_lshrrev_b32_e32 v17, 6, v17
	v_lshrrev_b32_e32 v22, 6, v18
	v_add_nc_u32_e32 v0, s3, v0
	ds_load_b128 v[33:36], v19 offset:32368
	ds_load_b128 v[37:40], v0 offset:512
	v_lshl_add_u32 v0, v21, 4, 0
	v_add_nc_u32_e32 v19, s3, v20
	ds_load_b128 v[41:44], v0 offset:32368
	ds_load_b128 v[45:48], v19 offset:512
	s_waitcnt lgkmcnt(5)
	v_mul_f64 v[53:54], v[27:28], v[31:32]
	v_mul_f64 v[31:32], v[25:26], v[31:32]
	v_and_b32_e32 v0, 0x1f0, v17
	v_and_b32_e32 v17, 0x1f0, v22
	s_delay_alu instid0(VALU_DEP_2) | instskip(NEXT) | instid1(VALU_DEP_2)
	v_add_nc_u32_e32 v0, s3, v0
	v_add_nc_u32_e32 v17, s3, v17
	ds_load_b128 v[21:24], v0 offset:1024
	ds_load_b128 v[17:20], v17 offset:1024
	s_waitcnt lgkmcnt(4)
	v_mul_f64 v[55:56], v[35:36], v[39:40]
	v_fma_f64 v[57:58], v[5:6], v[1:2], -v[51:52]
	v_fma_f64 v[59:60], v[7:8], v[1:2], v[3:4]
	v_lshrrev_b32_e32 v2, 1, v65
	v_and_b32_e32 v3, 31, v65
	v_mul_f64 v[0:1], v[33:34], v[39:40]
	v_add_nc_u32_e32 v4, v65, v50
	s_waitcnt lgkmcnt(2)
	v_mul_f64 v[39:40], v[43:44], v[47:48]
	v_and_b32_e32 v2, 0x1f0, v2
	v_lshl_add_u32 v3, v3, 4, 0
	v_mul_f64 v[47:48], v[41:42], v[47:48]
	s_delay_alu instid0(VALU_DEP_3)
	v_add_nc_u32_e32 v2, s3, v2
	v_fma_f64 v[61:62], v[25:26], v[29:30], -v[53:54]
	v_fma_f64 v[63:64], v[27:28], v[29:30], v[31:32]
	ds_load_b128 v[25:28], v2 offset:512
	ds_load_b128 v[29:32], v3 offset:32368
	v_lshrrev_b32_e32 v2, 6, v65
	v_lshrrev_b32_e32 v3, 6, v4
	s_delay_alu instid0(VALU_DEP_2) | instskip(NEXT) | instid1(VALU_DEP_2)
	v_and_b32_e32 v2, 0x1f0, v2
	v_and_b32_e32 v3, 0x1f0, v3
	s_delay_alu instid0(VALU_DEP_2) | instskip(SKIP_1) | instid1(VALU_DEP_3)
	v_add_nc_u32_e32 v2, s3, v2
	v_fma_f64 v[65:66], v[33:34], v[37:38], -v[55:56]
	v_add_nc_u32_e32 v3, s3, v3
	ds_load_b128 v[5:8], v2 offset:1024
	ds_load_b128 v[220:223], v3 offset:1024
	v_add_nc_u32_e32 v2, v4, v50
	s_waitcnt lgkmcnt(2)
	v_mul_f64 v[33:34], v[31:32], v[27:28]
	v_mul_f64 v[27:28], v[29:30], v[27:28]
	v_fma_f64 v[67:68], v[35:36], v[37:38], v[0:1]
	v_lshrrev_b32_e32 v0, 1, v4
	v_and_b32_e32 v1, 31, v4
	v_fma_f64 v[70:71], v[41:42], v[45:46], -v[39:40]
	v_fma_f64 v[72:73], v[43:44], v[45:46], v[47:48]
	s_delay_alu instid0(VALU_DEP_4) | instskip(NEXT) | instid1(VALU_DEP_4)
	v_and_b32_e32 v0, 0x1f0, v0
	v_lshl_add_u32 v1, v1, 4, 0
	v_add_nc_u32_e32 v43, v2, v50
	s_delay_alu instid0(VALU_DEP_3)
	v_add_nc_u32_e32 v0, s3, v0
	v_fma_f64 v[74:75], v[29:30], v[25:26], -v[33:34]
	v_fma_f64 v[76:77], v[31:32], v[25:26], v[27:28]
	ds_load_b128 v[25:28], v1 offset:32368
	ds_load_b128 v[29:32], v0 offset:512
	v_lshrrev_b32_e32 v0, 1, v2
	v_and_b32_e32 v1, 31, v2
	v_lshrrev_b32_e32 v2, 6, v2
	s_delay_alu instid0(VALU_DEP_3) | instskip(NEXT) | instid1(VALU_DEP_3)
	v_and_b32_e32 v0, 0x1f0, v0
	v_lshl_add_u32 v4, v1, 4, 0
	s_delay_alu instid0(VALU_DEP_3) | instskip(NEXT) | instid1(VALU_DEP_3)
	v_and_b32_e32 v2, 0x1f0, v2
	v_add_nc_u32_e32 v3, s3, v0
	s_delay_alu instid0(VALU_DEP_2) | instskip(SKIP_3) | instid1(VALU_DEP_2)
	v_add_nc_u32_e32 v2, s3, v2
	s_waitcnt lgkmcnt(0)
	v_mul_f64 v[33:34], v[27:28], v[31:32]
	v_mul_f64 v[31:32], v[25:26], v[31:32]
	v_fma_f64 v[78:79], v[25:26], v[29:30], -v[33:34]
	ds_load_b128 v[33:36], v3 offset:512
	ds_load_b128 v[37:40], v4 offset:32368
	v_lshrrev_b32_e32 v3, 6, v43
	v_fma_f64 v[0:1], v[27:28], v[29:30], v[31:32]
	s_delay_alu instid0(VALU_DEP_2) | instskip(NEXT) | instid1(VALU_DEP_1)
	v_and_b32_e32 v3, 0x1f0, v3
	v_add_nc_u32_e32 v3, s3, v3
	ds_load_b128 v[29:32], v2 offset:1024
	ds_load_b128 v[224:227], v3 offset:1024
	v_lshrrev_b32_e32 v2, 1, v43
	v_and_b32_e32 v3, 31, v43
	s_waitcnt lgkmcnt(2)
	v_mul_f64 v[41:42], v[39:40], v[35:36]
	v_mul_f64 v[35:36], v[37:38], v[35:36]
	v_and_b32_e32 v2, 0x1f0, v2
	v_lshl_add_u32 v3, v3, 4, 0
	s_delay_alu instid0(VALU_DEP_2)
	v_add_nc_u32_e32 v2, s3, v2
	v_fma_f64 v[228:229], v[37:38], v[33:34], -v[41:42]
	v_fma_f64 v[83:84], v[39:40], v[33:34], v[35:36]
	ds_load_b128 v[33:36], v3 offset:32368
	ds_load_b128 v[37:40], v2 offset:512
	v_add_nc_u32_e32 v2, v43, v50
	s_delay_alu instid0(VALU_DEP_1) | instskip(SKIP_3) | instid1(VALU_DEP_4)
	v_add_nc_u32_e32 v25, v2, v50
	v_lshrrev_b32_e32 v3, 1, v2
	v_lshrrev_b32_e32 v4, 6, v2
	v_and_b32_e32 v2, 31, v2
	v_lshrrev_b32_e32 v26, 6, v25
	s_delay_alu instid0(VALU_DEP_4) | instskip(NEXT) | instid1(VALU_DEP_4)
	v_and_b32_e32 v3, 0x1f0, v3
	v_and_b32_e32 v4, 0x1f0, v4
	s_delay_alu instid0(VALU_DEP_4) | instskip(NEXT) | instid1(VALU_DEP_4)
	v_lshl_add_u32 v2, v2, 4, 0
	v_and_b32_e32 v26, 0x1f0, v26
	s_delay_alu instid0(VALU_DEP_4) | instskip(NEXT) | instid1(VALU_DEP_4)
	v_add_nc_u32_e32 v3, s3, v3
	v_add_nc_u32_e32 v4, s3, v4
	s_waitcnt lgkmcnt(0)
	v_mul_f64 v[41:42], v[35:36], v[39:40]
	v_add_nc_u32_e32 v26, s3, v26
	s_delay_alu instid0(VALU_DEP_2) | instskip(SKIP_1) | instid1(VALU_DEP_1)
	v_fma_f64 v[116:117], v[33:34], v[37:38], -v[41:42]
	v_mul_f64 v[33:34], v[33:34], v[39:40]
	v_fma_f64 v[88:89], v[35:36], v[37:38], v[33:34]
	ds_load_b128 v[41:44], v3 offset:512
	ds_load_b128 v[45:48], v2 offset:32368
	;; [unrolled: 1-line block ×4, first 2 shown]
	v_lshrrev_b32_e32 v2, 1, v25
	v_and_b32_e32 v3, 31, v25
	s_delay_alu instid0(VALU_DEP_2) | instskip(NEXT) | instid1(VALU_DEP_2)
	v_and_b32_e32 v2, 0x1f0, v2
	v_lshl_add_u32 v3, v3, 4, 0
	s_delay_alu instid0(VALU_DEP_2) | instskip(SKIP_3) | instid1(VALU_DEP_2)
	v_add_nc_u32_e32 v2, s3, v2
	s_waitcnt lgkmcnt(2)
	v_mul_f64 v[51:52], v[47:48], v[43:44]
	v_mul_f64 v[43:44], v[45:46], v[43:44]
	v_fma_f64 v[90:91], v[45:46], v[41:42], -v[51:52]
	s_delay_alu instid0(VALU_DEP_2) | instskip(SKIP_3) | instid1(VALU_DEP_1)
	v_fma_f64 v[92:93], v[47:48], v[41:42], v[43:44]
	ds_load_b128 v[41:44], v3 offset:32368
	ds_load_b128 v[45:48], v2 offset:512
	v_add_nc_u32_e32 v2, v25, v50
	v_add_nc_u32_e32 v25, v2, v50
	v_lshrrev_b32_e32 v3, 1, v2
	v_lshrrev_b32_e32 v4, 6, v2
	v_and_b32_e32 v2, 31, v2
	s_delay_alu instid0(VALU_DEP_4) | instskip(NEXT) | instid1(VALU_DEP_4)
	v_lshrrev_b32_e32 v26, 6, v25
	v_and_b32_e32 v3, 0x1f0, v3
	s_delay_alu instid0(VALU_DEP_4) | instskip(NEXT) | instid1(VALU_DEP_4)
	v_and_b32_e32 v4, 0x1f0, v4
	v_lshl_add_u32 v2, v2, 4, 0
	s_delay_alu instid0(VALU_DEP_4) | instskip(NEXT) | instid1(VALU_DEP_4)
	v_and_b32_e32 v26, 0x1f0, v26
	v_add_nc_u32_e32 v3, s3, v3
	s_delay_alu instid0(VALU_DEP_4) | instskip(SKIP_3) | instid1(VALU_DEP_2)
	v_add_nc_u32_e32 v4, s3, v4
	s_waitcnt lgkmcnt(0)
	v_mul_f64 v[51:52], v[43:44], v[47:48]
	v_add_nc_u32_e32 v26, s3, v26
	v_fma_f64 v[94:95], v[41:42], v[45:46], -v[51:52]
	v_mul_f64 v[41:42], v[41:42], v[47:48]
	s_delay_alu instid0(VALU_DEP_1)
	v_fma_f64 v[232:233], v[43:44], v[45:46], v[41:42]
	ds_load_b128 v[51:54], v3 offset:512
	ds_load_b128 v[100:103], v2 offset:32368
	;; [unrolled: 1-line block ×4, first 2 shown]
	v_lshrrev_b32_e32 v2, 1, v25
	v_and_b32_e32 v3, 31, v25
	s_delay_alu instid0(VALU_DEP_2) | instskip(NEXT) | instid1(VALU_DEP_2)
	v_and_b32_e32 v2, 0x1f0, v2
	v_lshl_add_u32 v3, v3, 4, 0
	s_delay_alu instid0(VALU_DEP_2) | instskip(SKIP_3) | instid1(VALU_DEP_2)
	v_add_nc_u32_e32 v2, s3, v2
	s_waitcnt lgkmcnt(2)
	v_mul_f64 v[55:56], v[102:103], v[53:54]
	v_mul_f64 v[53:54], v[100:101], v[53:54]
	v_fma_f64 v[230:231], v[100:101], v[51:52], -v[55:56]
	s_delay_alu instid0(VALU_DEP_2) | instskip(SKIP_3) | instid1(VALU_DEP_1)
	v_fma_f64 v[236:237], v[102:103], v[51:52], v[53:54]
	ds_load_b128 v[51:54], v3 offset:32368
	ds_load_b128 v[104:107], v2 offset:512
	v_add_nc_u32_e32 v2, v25, v50
	v_lshrrev_b32_e32 v3, 1, v2
	s_waitcnt lgkmcnt(0)
	v_mul_f64 v[55:56], v[53:54], v[106:107]
	s_delay_alu instid0(VALU_DEP_1) | instskip(SKIP_1) | instid1(VALU_DEP_1)
	v_fma_f64 v[55:56], v[51:52], v[104:105], -v[55:56]
	v_mul_f64 v[51:52], v[51:52], v[106:107]
	v_fma_f64 v[101:102], v[53:54], v[104:105], v[51:52]
	v_add_nc_u32_e32 v51, v2, v50
	v_and_b32_e32 v52, 0x1f0, v3
	v_lshrrev_b32_e32 v3, 6, v2
	v_and_b32_e32 v54, 31, v2
	s_delay_alu instid0(VALU_DEP_4) | instskip(NEXT) | instid1(VALU_DEP_3)
	v_lshrrev_b32_e32 v2, 6, v51
	v_and_b32_e32 v53, 0x1f0, v3
	v_add_nc_u32_e32 v3, s3, v52
	s_delay_alu instid0(VALU_DEP_4) | instskip(NEXT) | instid1(VALU_DEP_4)
	v_lshl_add_u32 v4, v54, 4, 0
	v_and_b32_e32 v2, 0x1f0, v2
	s_delay_alu instid0(VALU_DEP_4) | instskip(NEXT) | instid1(VALU_DEP_2)
	v_add_nc_u32_e32 v25, s3, v53
	v_add_nc_u32_e32 v2, s3, v2
	ds_load_b128 v[106:109], v3 offset:512
	ds_load_b128 v[110:113], v4 offset:32368
	;; [unrolled: 1-line block ×4, first 2 shown]
	v_add_nc_u32_e32 v2, v51, v50
	s_delay_alu instid0(VALU_DEP_1) | instskip(SKIP_3) | instid1(VALU_DEP_4)
	v_add_nc_u32_e32 v4, v2, v50
	v_lshrrev_b32_e32 v3, 1, v2
	v_lshrrev_b32_e32 v25, 6, v2
	v_and_b32_e32 v2, 31, v2
	v_lshrrev_b32_e32 v26, 6, v4
	s_delay_alu instid0(VALU_DEP_4) | instskip(NEXT) | instid1(VALU_DEP_4)
	v_and_b32_e32 v3, 0x1f0, v3
	v_and_b32_e32 v25, 0x1f0, v25
	s_delay_alu instid0(VALU_DEP_4) | instskip(NEXT) | instid1(VALU_DEP_4)
	v_lshl_add_u32 v2, v2, 4, 0
	v_and_b32_e32 v26, 0x1f0, v26
	s_delay_alu instid0(VALU_DEP_4)
	v_add_nc_u32_e32 v3, s3, v3
	s_waitcnt lgkmcnt(2)
	v_mul_f64 v[114:115], v[112:113], v[108:109]
	v_mul_f64 v[108:109], v[110:111], v[108:109]
	v_add_nc_u32_e32 v25, s3, v25
	v_add_nc_u32_e32 v26, s3, v26
	s_delay_alu instid0(VALU_DEP_4) | instskip(NEXT) | instid1(VALU_DEP_4)
	v_fma_f64 v[202:203], v[110:111], v[106:107], -v[114:115]
	v_fma_f64 v[204:205], v[112:113], v[106:107], v[108:109]
	ds_load_b128 v[106:109], v3 offset:512
	ds_load_b128 v[110:113], v2 offset:32368
	;; [unrolled: 1-line block ×4, first 2 shown]
	v_lshrrev_b32_e32 v2, 1, v4
	v_and_b32_e32 v3, 31, v4
	s_delay_alu instid0(VALU_DEP_2) | instskip(NEXT) | instid1(VALU_DEP_2)
	v_and_b32_e32 v2, 0x1f0, v2
	v_lshl_add_u32 v3, v3, 4, 0
	s_delay_alu instid0(VALU_DEP_2) | instskip(SKIP_3) | instid1(VALU_DEP_2)
	v_add_nc_u32_e32 v2, s3, v2
	s_waitcnt lgkmcnt(2)
	v_mul_f64 v[114:115], v[112:113], v[108:109]
	v_mul_f64 v[108:109], v[110:111], v[108:109]
	v_fma_f64 v[206:207], v[110:111], v[106:107], -v[114:115]
	s_delay_alu instid0(VALU_DEP_2)
	v_fma_f64 v[208:209], v[112:113], v[106:107], v[108:109]
	ds_load_b128 v[106:109], v3 offset:32368
	ds_load_b128 v[110:113], v2 offset:512
	v_mul_lo_u32 v2, v82, v80
	scratch_store_b32 off, v82, off offset:84 ; 4-byte Folded Spill
	v_lshrrev_b32_e32 v3, 1, v2
	v_lshrrev_b32_e32 v4, 6, v2
	v_and_b32_e32 v2, 31, v2
	s_delay_alu instid0(VALU_DEP_3) | instskip(NEXT) | instid1(VALU_DEP_3)
	v_and_b32_e32 v3, 0x1f0, v3
	v_and_b32_e32 v4, 0x1f0, v4
	s_delay_alu instid0(VALU_DEP_3) | instskip(NEXT) | instid1(VALU_DEP_3)
	v_lshl_add_u32 v2, v2, 4, 0
	v_add_nc_u32_e32 v3, s3, v3
	s_waitcnt lgkmcnt(0)
	v_mul_f64 v[114:115], v[108:109], v[112:113]
	v_add_nc_u32_e32 v4, s3, v4
	s_delay_alu instid0(VALU_DEP_2) | instskip(SKIP_1) | instid1(VALU_DEP_1)
	v_fma_f64 v[210:211], v[106:107], v[110:111], -v[114:115]
	v_mul_f64 v[106:107], v[106:107], v[112:113]
	v_fma_f64 v[212:213], v[108:109], v[110:111], v[106:107]
	ds_load_b128 v[106:109], v3 offset:512
	ds_load_b128 v[110:113], v2 offset:32368
	;; [unrolled: 1-line block ×3, first 2 shown]
	v_lshrrev_b32_e32 v2, 1, v51
	v_and_b32_e32 v3, 31, v51
	s_delay_alu instid0(VALU_DEP_2) | instskip(NEXT) | instid1(VALU_DEP_2)
	v_and_b32_e32 v2, 0x1f0, v2
	v_lshl_add_u32 v3, v3, 4, 0
	s_delay_alu instid0(VALU_DEP_2) | instskip(SKIP_4) | instid1(VALU_DEP_2)
	v_add_nc_u32_e32 v2, s3, v2
	s_mul_i32 s3, s61, s2
	s_waitcnt lgkmcnt(1)
	v_mul_f64 v[114:115], v[112:113], v[108:109]
	v_mul_f64 v[108:109], v[110:111], v[108:109]
	v_fma_f64 v[214:215], v[110:111], v[106:107], -v[114:115]
	s_delay_alu instid0(VALU_DEP_2) | instskip(SKIP_4) | instid1(VALU_DEP_1)
	v_fma_f64 v[216:217], v[112:113], v[106:107], v[108:109]
	ds_load_b128 v[106:109], v3 offset:32368
	ds_load_b128 v[110:113], v2 offset:512
	s_waitcnt lgkmcnt(0)
	v_mul_f64 v[50:51], v[108:109], v[112:113]
	v_fma_f64 v[2:3], v[106:107], v[110:111], -v[50:51]
	v_mul_f64 v[50:51], v[106:107], v[112:113]
	scratch_store_b64 off, v[2:3], off offset:108 ; 8-byte Folded Spill
	v_fma_f64 v[2:3], v[108:109], v[110:111], v[50:51]
	scratch_store_b64 off, v[2:3], off offset:116 ; 8-byte Folded Spill
	v_lshlrev_b32_e32 v3, 8, v82
	v_mul_u32_u24_e32 v2, 0x70, v69
	global_load_b128 v[106:109], v3, s[4:5]
	v_add3_u32 v2, 0, v2, v49
	ds_load_b128 v[110:113], v2 offset:1904
	ds_load_b128 v[49:52], v2
	global_load_b128 v[118:121], v3, s[4:5] offset:16
	s_waitcnt vmcnt(1) lgkmcnt(1)
	v_mul_f64 v[114:115], v[112:113], v[108:109]
	v_mul_f64 v[108:109], v[110:111], v[108:109]
	s_delay_alu instid0(VALU_DEP_2) | instskip(NEXT) | instid1(VALU_DEP_2)
	v_fma_f64 v[114:115], v[110:111], v[106:107], v[114:115]
	v_fma_f64 v[234:235], v[112:113], v[106:107], -v[108:109]
	s_clause 0x1
	global_load_b128 v[108:111], v3, s[4:5] offset:240
	global_load_b128 v[126:129], v3, s[4:5] offset:224
	ds_load_b128 v[122:125], v2 offset:30464
	s_waitcnt vmcnt(1) lgkmcnt(0)
	v_mul_f64 v[106:107], v[124:125], v[110:111]
	v_mul_f64 v[110:111], v[122:123], v[110:111]
	s_delay_alu instid0(VALU_DEP_2) | instskip(NEXT) | instid1(VALU_DEP_2)
	v_fma_f64 v[53:54], v[122:123], v[108:109], v[106:107]
	v_fma_f64 v[103:104], v[124:125], v[108:109], -v[110:111]
	ds_load_b128 v[110:113], v2 offset:3808
	ds_load_b128 v[132:135], v2 offset:5712
	s_waitcnt lgkmcnt(1)
	v_mul_f64 v[122:123], v[112:113], v[120:121]
	s_delay_alu instid0(VALU_DEP_1) | instskip(SKIP_1) | instid1(VALU_DEP_1)
	v_fma_f64 v[122:123], v[110:111], v[118:119], v[122:123]
	v_mul_f64 v[110:111], v[110:111], v[120:121]
	v_fma_f64 v[124:125], v[112:113], v[118:119], -v[110:111]
	ds_load_b128 v[118:121], v2 offset:28560
	ds_load_b128 v[136:139], v2 offset:26656
	s_waitcnt vmcnt(0) lgkmcnt(1)
	v_mul_f64 v[110:111], v[120:121], v[128:129]
	v_mul_f64 v[112:113], v[118:119], v[128:129]
	s_delay_alu instid0(VALU_DEP_2) | instskip(NEXT) | instid1(VALU_DEP_2)
	v_fma_f64 v[107:108], v[118:119], v[126:127], v[110:111]
	v_fma_f64 v[109:110], v[120:121], v[126:127], -v[112:113]
	s_clause 0x3
	global_load_b128 v[118:121], v3, s[4:5] offset:32
	global_load_b128 v[126:129], v3, s[4:5] offset:48
	;; [unrolled: 1-line block ×4, first 2 shown]
	s_waitcnt vmcnt(3)
	v_mul_f64 v[130:131], v[134:135], v[120:121]
	v_mul_f64 v[120:121], v[132:133], v[120:121]
	s_delay_alu instid0(VALU_DEP_2) | instskip(NEXT) | instid1(VALU_DEP_2)
	v_fma_f64 v[130:131], v[132:133], v[118:119], v[130:131]
	v_fma_f64 v[132:133], v[134:135], v[118:119], -v[120:121]
	s_waitcnt vmcnt(1) lgkmcnt(0)
	v_mul_f64 v[118:119], v[138:139], v[142:143]
	v_mul_f64 v[120:121], v[136:137], v[142:143]
	s_delay_alu instid0(VALU_DEP_2) | instskip(NEXT) | instid1(VALU_DEP_2)
	v_fma_f64 v[111:112], v[136:137], v[140:141], v[118:119]
	v_fma_f64 v[118:119], v[138:139], v[140:141], -v[120:121]
	ds_load_b128 v[136:139], v2 offset:7616
	ds_load_b128 v[148:151], v2 offset:9520
	s_waitcnt lgkmcnt(1)
	v_mul_f64 v[134:135], v[138:139], v[128:129]
	v_mul_f64 v[128:129], v[136:137], v[128:129]
	s_delay_alu instid0(VALU_DEP_2) | instskip(NEXT) | instid1(VALU_DEP_2)
	v_fma_f64 v[134:135], v[136:137], v[126:127], v[134:135]
	v_fma_f64 v[136:137], v[138:139], v[126:127], -v[128:129]
	ds_load_b128 v[138:141], v2 offset:24752
	ds_load_b128 v[152:155], v2 offset:22848
	s_waitcnt vmcnt(0) lgkmcnt(1)
	v_mul_f64 v[126:127], v[140:141], v[146:147]
	v_mul_f64 v[128:129], v[138:139], v[146:147]
	s_delay_alu instid0(VALU_DEP_2) | instskip(NEXT) | instid1(VALU_DEP_2)
	v_fma_f64 v[120:121], v[138:139], v[144:145], v[126:127]
	v_fma_f64 v[126:127], v[140:141], v[144:145], -v[128:129]
	global_load_b128 v[140:143], v3, s[4:5] offset:112
	ds_load_b128 v[144:147], v2 offset:15232
	ds_load_b128 v[190:193], v2 offset:17136
	global_load_b128 v[160:163], v3, s[4:5] offset:96
	s_waitcnt vmcnt(1) lgkmcnt(1)
	v_mul_f64 v[138:139], v[146:147], v[142:143]
	v_mul_f64 v[142:143], v[144:145], v[142:143]
	s_delay_alu instid0(VALU_DEP_2) | instskip(NEXT) | instid1(VALU_DEP_2)
	v_fma_f64 v[128:129], v[144:145], v[140:141], v[138:139]
	v_fma_f64 v[138:139], v[146:147], v[140:141], -v[142:143]
	s_clause 0x3
	global_load_b128 v[142:145], v3, s[4:5] offset:64
	global_load_b128 v[156:159], v3, s[4:5] offset:80
	;; [unrolled: 1-line block ×4, first 2 shown]
	s_waitcnt vmcnt(3)
	v_mul_f64 v[146:147], v[150:151], v[144:145]
	v_mul_f64 v[144:145], v[148:149], v[144:145]
	s_delay_alu instid0(VALU_DEP_2) | instskip(NEXT) | instid1(VALU_DEP_2)
	v_fma_f64 v[242:243], v[148:149], v[142:143], v[146:147]
	v_fma_f64 v[244:245], v[150:151], v[142:143], -v[144:145]
	s_waitcnt vmcnt(1)
	v_mul_f64 v[142:143], v[154:155], v[166:167]
	v_mul_f64 v[144:145], v[152:153], v[166:167]
	s_delay_alu instid0(VALU_DEP_2) | instskip(NEXT) | instid1(VALU_DEP_2)
	v_fma_f64 v[140:141], v[152:153], v[164:165], v[142:143]
	v_fma_f64 v[142:143], v[154:155], v[164:165], -v[144:145]
	ds_load_b128 v[150:153], v2 offset:11424
	ds_load_b128 v[164:167], v2 offset:13328
	;; [unrolled: 1-line block ×4, first 2 shown]
	s_waitcnt lgkmcnt(3)
	v_mul_f64 v[154:155], v[152:153], v[158:159]
	s_delay_alu instid0(VALU_DEP_1) | instskip(SKIP_4) | instid1(VALU_DEP_3)
	v_fma_f64 v[250:251], v[150:151], v[156:157], v[154:155]
	v_mul_f64 v[150:151], v[150:151], v[158:159]
	s_waitcnt lgkmcnt(2)
	v_mul_f64 v[158:159], v[166:167], v[162:163]
	v_mul_f64 v[162:163], v[164:165], v[162:163]
	v_fma_f64 v[252:253], v[152:153], v[156:157], -v[150:151]
	s_waitcnt vmcnt(0) lgkmcnt(1)
	v_mul_f64 v[150:151], v[196:197], v[171:172]
	v_mul_f64 v[152:153], v[194:195], v[171:172]
	s_delay_alu instid0(VALU_DEP_4) | instskip(NEXT) | instid1(VALU_DEP_3)
	v_fma_f64 v[162:163], v[166:167], v[160:161], -v[162:163]
	v_fma_f64 v[144:145], v[194:195], v[169:170], v[150:151]
	s_delay_alu instid0(VALU_DEP_3)
	v_fma_f64 v[153:154], v[196:197], v[169:170], -v[152:153]
	v_fma_f64 v[170:171], v[164:165], v[160:161], v[158:159]
	s_clause 0x1
	global_load_b128 v[164:167], v3, s[4:5] offset:144
	global_load_b128 v[194:197], v3, s[4:5] offset:128
	v_mul_f64 v[2:3], v[65:66], v[23:24]
	s_mul_hi_u32 s4, s60, s2
	s_mul_i32 s2, s60, s2
	s_add_i32 s3, s4, s3
	s_delay_alu instid0(SALU_CYCLE_1) | instskip(NEXT) | instid1(SALU_CYCLE_1)
	s_lshl_b64 s[2:3], s[2:3], 4
	s_add_u32 s2, s18, s2
	s_addc_u32 s3, s19, s3
	s_lshl_b64 s[0:1], s[0:1], 4
	s_delay_alu instid0(SALU_CYCLE_1) | instskip(SKIP_4) | instid1(VALU_DEP_2)
	s_add_u32 s0, s2, s0
	s_addc_u32 s1, s3, s1
	s_waitcnt vmcnt(1) lgkmcnt(0)
	v_mul_f64 v[160:161], v[200:201], v[166:167]
	v_mul_f64 v[166:167], v[198:199], v[166:167]
	v_fma_f64 v[159:160], v[198:199], v[164:165], v[160:161]
	s_delay_alu instid0(VALU_DEP_2) | instskip(SKIP_2) | instid1(VALU_DEP_1)
	v_fma_f64 v[164:165], v[200:201], v[164:165], -v[166:167]
	s_waitcnt vmcnt(0)
	v_mul_f64 v[166:167], v[192:193], v[196:197]
	v_fma_f64 v[172:173], v[190:191], v[194:195], v[166:167]
	v_mul_f64 v[166:167], v[190:191], v[196:197]
	s_delay_alu instid0(VALU_DEP_1) | instskip(SKIP_2) | instid1(VALU_DEP_2)
	v_fma_f64 v[192:193], v[192:193], v[194:195], -v[166:167]
	v_mul_f64 v[166:167], v[59:60], v[15:16]
	v_mul_f64 v[15:16], v[57:58], v[15:16]
	v_fma_f64 v[218:219], v[13:14], v[57:58], -v[166:167]
	s_delay_alu instid0(VALU_DEP_2) | instskip(SKIP_2) | instid1(VALU_DEP_2)
	v_fma_f64 v[105:106], v[13:14], v[59:60], v[15:16]
	v_mul_f64 v[15:16], v[63:64], v[11:12]
	v_mul_f64 v[11:12], v[61:62], v[11:12]
	v_fma_f64 v[57:58], v[9:10], v[61:62], -v[15:16]
	s_delay_alu instid0(VALU_DEP_2)
	v_fma_f64 v[59:60], v[9:10], v[63:64], v[11:12]
	v_mul_f64 v[9:10], v[67:68], v[23:24]
	v_add_f64 v[61:62], v[234:235], v[103:104]
	v_add_f64 v[63:64], v[124:125], v[109:110]
	v_fma_f64 v[24:25], v[21:22], v[67:68], v[2:3]
	v_mul_f64 v[2:3], v[72:73], v[19:20]
	v_add_f64 v[67:68], v[122:123], v[107:108]
	v_mul_f64 v[15:16], v[116:117], v[226:227]
	v_add_f64 v[12:13], v[244:245], -v[142:143]
	v_fma_f64 v[26:27], v[21:22], v[65:66], -v[9:10]
	v_mul_f64 v[9:10], v[76:77], v[7:8]
	v_mul_f64 v[7:8], v[74:75], v[7:8]
	v_add_f64 v[65:66], v[114:115], v[53:54]
	v_mul_f64 v[22:23], v[92:93], v[39:40]
	v_fma_f64 v[85:86], v[17:18], v[70:71], -v[2:3]
	v_mul_f64 v[2:3], v[70:71], v[19:20]
	v_mul_f64 v[19:20], v[90:91], v[39:40]
	v_fma_f64 v[151:152], v[224:225], v[88:89], v[15:16]
	v_add_f64 v[14:15], v[242:243], -v[140:141]
	v_fma_f64 v[166:167], v[5:6], v[74:75], -v[9:10]
	v_fma_f64 v[168:169], v[5:6], v[76:77], v[7:8]
	v_mul_f64 v[6:7], v[78:79], v[222:223]
	v_mul_f64 v[10:11], v[83:84], v[31:32]
	;; [unrolled: 1-line block ×3, first 2 shown]
	v_fma_f64 v[155:156], v[37:38], v[90:91], -v[22:23]
	v_add_f64 v[22:23], v[130:131], -v[111:112]
	v_fma_f64 v[81:82], v[17:18], v[72:73], v[2:3]
	v_fma_f64 v[157:158], v[37:38], v[92:93], v[19:20]
	v_add_f64 v[20:21], v[132:133], -v[118:119]
	v_mul_f64 v[17:18], v[88:89], v[226:227]
	v_add_f64 v[8:9], v[252:253], -v[153:154]
	v_add_f64 v[2:3], v[138:139], -v[192:193]
	v_fma_f64 v[97:98], v[220:221], v[0:1], v[6:7]
	v_mul_f64 v[6:7], v[228:229], v[31:32]
	v_fma_f64 v[147:148], v[29:30], v[228:229], -v[10:11]
	v_fma_f64 v[99:100], v[220:221], v[78:79], -v[4:5]
	v_add_f64 v[10:11], v[250:251], -v[144:145]
	v_add_f64 v[4:5], v[162:163], -v[164:165]
	v_fma_f64 v[190:191], v[224:225], v[116:117], -v[17:18]
	v_add_f64 v[18:19], v[134:135], -v[120:121]
	v_add_f64 v[16:17], v[136:137], -v[126:127]
	v_fma_f64 v[149:150], v[29:30], v[83:84], v[6:7]
	v_mul_f64 v[28:29], v[94:95], v[35:36]
	v_add_f64 v[6:7], v[170:171], -v[159:160]
	v_mul_f64 v[254:255], v[18:19], s[36:37]
	s_delay_alu instid0(VALU_DEP_3) | instskip(SKIP_1) | instid1(VALU_DEP_1)
	v_fma_f64 v[248:249], v[33:34], v[232:233], v[28:29]
	v_mul_f64 v[28:29], v[232:233], v[35:36]
	v_fma_f64 v[246:247], v[33:34], v[94:95], -v[28:29]
	v_mul_f64 v[28:29], v[230:231], v[47:48]
	v_add_f64 v[32:33], v[114:115], -v[53:54]
	v_add_f64 v[34:35], v[122:123], -v[107:108]
	s_delay_alu instid0(VALU_DEP_3)
	v_fma_f64 v[0:1], v[45:46], v[236:237], v[28:29]
	v_mul_f64 v[28:29], v[236:237], v[47:48]
	v_mul_f64 v[47:48], v[14:15], s[38:39]
	scratch_store_b64 off, v[0:1], off offset:696 ; 8-byte Folded Spill
	v_fma_f64 v[0:1], v[45:46], v[230:231], -v[28:29]
	v_mul_f64 v[28:29], v[55:56], v[43:44]
	v_mul_f64 v[230:231], v[10:11], s[52:53]
	;; [unrolled: 1-line block ×3, first 2 shown]
	scratch_store_b64 off, v[0:1], off offset:688 ; 8-byte Folded Spill
	v_fma_f64 v[0:1], v[41:42], v[101:102], v[28:29]
	v_mul_f64 v[28:29], v[101:102], v[43:44]
	v_add_f64 v[43:44], v[124:125], -v[109:110]
	scratch_store_b64 off, v[0:1], off offset:600 ; 8-byte Folded Spill
	v_fma_f64 v[0:1], v[41:42], v[55:56], -v[28:29]
	v_mul_f64 v[28:29], v[202:203], v[176:177]
	v_add_f64 v[41:42], v[234:235], -v[103:104]
	v_mul_f64 v[55:56], v[18:19], s[58:59]
	scratch_store_b64 off, v[0:1], off offset:592 ; 8-byte Folded Spill
	v_fma_f64 v[0:1], v[174:175], v[204:205], v[28:29]
	v_mul_f64 v[28:29], v[204:205], v[176:177]
	v_mul_f64 v[101:102], v[41:42], s[34:35]
	scratch_store_b64 off, v[0:1], off offset:520 ; 8-byte Folded Spill
	v_fma_f64 v[0:1], v[174:175], v[202:203], -v[28:29]
	v_mul_f64 v[28:29], v[206:207], v[180:181]
	scratch_store_b64 off, v[0:1], off offset:512 ; 8-byte Folded Spill
	v_fma_f64 v[0:1], v[178:179], v[208:209], v[28:29]
	v_mul_f64 v[28:29], v[208:209], v[180:181]
	scratch_store_b64 off, v[0:1], off offset:320 ; 8-byte Folded Spill
	v_fma_f64 v[0:1], v[178:179], v[206:207], -v[28:29]
	v_mul_f64 v[28:29], v[210:211], v[184:185]
	scratch_store_b64 off, v[0:1], off offset:304 ; 8-byte Folded Spill
	v_fma_f64 v[0:1], v[182:183], v[212:213], v[28:29]
	;; [unrolled: 6-line block ×3, first 2 shown]
	v_mul_f64 v[28:29], v[216:217], v[188:189]
	scratch_store_b64 off, v[0:1], off offset:132 ; 8-byte Folded Spill
	v_fma_f64 v[0:1], v[186:187], v[214:215], -v[28:29]
	s_clause 0x2
	scratch_store_b64 off, v[0:1], off offset:124
	scratch_store_b64 off, v[53:54], off offset:148
	;; [unrolled: 1-line block ×3, first 2 shown]
	v_mul_f64 v[0:1], v[32:33], s[38:39]
	s_clause 0x1
	scratch_store_b64 off, v[103:104], off offset:140
	scratch_store_b64 off, v[234:235], off offset:204
	v_mul_f64 v[234:235], v[14:15], s[56:57]
	v_mul_f64 v[115:116], v[41:42], s[28:29]
	;; [unrolled: 1-line block ×5, first 2 shown]
	scratch_store_b64 off, v[0:1], off offset:352 ; 8-byte Folded Spill
	v_fma_f64 v[28:29], v[61:62], s[10:11], v[0:1]
	v_mul_f64 v[0:1], v[34:35], s[42:43]
	s_clause 0x3
	scratch_store_b64 off, v[107:108], off offset:164
	scratch_store_b64 off, v[122:123], off offset:248
	;; [unrolled: 1-line block ×4, first 2 shown]
	v_mul_f64 v[123:124], v[2:3], s[50:51]
	v_mul_f64 v[109:110], v[34:35], s[56:57]
	v_fma_f64 v[178:179], v[67:68], s[6:7], -v[113:114]
	v_mul_f64 v[107:108], v[43:44], s[52:53]
	v_add_f64 v[28:29], v[51:52], v[28:29]
	scratch_store_b64 off, v[0:1], off offset:368 ; 8-byte Folded Spill
	v_fma_f64 v[30:31], v[63:64], s[16:17], v[0:1]
	v_mul_f64 v[0:1], v[41:42], s[38:39]
	s_delay_alu instid0(VALU_DEP_2) | instskip(SKIP_3) | instid1(VALU_DEP_2)
	v_add_f64 v[28:29], v[30:31], v[28:29]
	scratch_store_b64 off, v[0:1], off offset:392 ; 8-byte Folded Spill
	v_fma_f64 v[30:31], v[65:66], s[10:11], -v[0:1]
	v_mul_f64 v[0:1], v[43:44], s[42:43]
	v_add_f64 v[30:31], v[49:50], v[30:31]
	s_delay_alu instid0(VALU_DEP_2)
	v_fma_f64 v[69:70], v[67:68], s[16:17], -v[0:1]
	scratch_store_b64 off, v[0:1], off offset:408 ; 8-byte Folded Spill
	v_mul_f64 v[0:1], v[22:23], s[44:45]
	s_clause 0x3
	scratch_store_b64 off, v[111:112], off offset:196
	scratch_store_b64 off, v[130:131], off offset:264
	;; [unrolled: 1-line block ×4, first 2 shown]
	v_add_f64 v[30:31], v[69:70], v[30:31]
	v_add_f64 v[69:70], v[132:133], v[118:119]
	scratch_store_b64 off, v[0:1], off offset:424 ; 8-byte Folded Spill
	v_mul_f64 v[117:118], v[10:11], s[34:35]
	v_fma_f64 v[71:72], v[69:70], s[26:27], v[0:1]
	v_mul_f64 v[0:1], v[20:21], s[44:45]
	s_delay_alu instid0(VALU_DEP_2)
	v_add_f64 v[28:29], v[71:72], v[28:29]
	v_add_f64 v[71:72], v[130:131], v[111:112]
	s_clause 0x4
	scratch_store_b64 off, v[0:1], off offset:440
	scratch_store_b64 off, v[120:121], off offset:240
	;; [unrolled: 1-line block ×5, first 2 shown]
	v_mul_f64 v[131:132], v[8:9], s[34:35]
	v_fma_f64 v[73:74], v[71:72], s[26:27], -v[0:1]
	v_mul_f64 v[0:1], v[18:19], s[40:41]
	s_delay_alu instid0(VALU_DEP_2)
	v_add_f64 v[30:31], v[73:74], v[30:31]
	v_add_f64 v[73:74], v[136:137], v[126:127]
	scratch_store_b64 off, v[0:1], off offset:464 ; 8-byte Folded Spill
	v_mul_f64 v[125:126], v[4:5], s[58:59]
	v_fma_f64 v[75:76], v[73:74], s[8:9], v[0:1]
	v_mul_f64 v[0:1], v[16:17], s[40:41]
	s_delay_alu instid0(VALU_DEP_2)
	v_add_f64 v[28:29], v[75:76], v[28:29]
	v_add_f64 v[75:76], v[134:135], v[120:121]
	s_clause 0x4
	scratch_store_b64 off, v[0:1], off offset:488
	scratch_store_b64 off, v[140:141], off offset:280
	;; [unrolled: 1-line block ×5, first 2 shown]
	v_mul_f64 v[133:134], v[22:23], s[52:53]
	v_mul_f64 v[119:120], v[14:15], s[44:45]
	;; [unrolled: 1-line block ×3, first 2 shown]
	v_fma_f64 v[77:78], v[75:76], s[8:9], -v[0:1]
	v_mul_f64 v[0:1], v[14:15], s[28:29]
	s_delay_alu instid0(VALU_DEP_2)
	v_add_f64 v[30:31], v[77:78], v[30:31]
	v_add_f64 v[77:78], v[244:245], v[142:143]
	scratch_store_b64 off, v[0:1], off offset:496 ; 8-byte Folded Spill
	v_mul_f64 v[244:245], v[22:23], s[30:31]
	v_fma_f64 v[79:80], v[77:78], s[20:21], v[0:1]
	v_mul_f64 v[0:1], v[12:13], s[28:29]
	s_delay_alu instid0(VALU_DEP_2)
	v_add_f64 v[28:29], v[79:80], v[28:29]
	v_add_f64 v[79:80], v[242:243], v[140:141]
	s_clause 0x4
	scratch_store_b64 off, v[0:1], off offset:504
	scratch_store_b64 off, v[144:145], off offset:336
	;; [unrolled: 1-line block ×5, first 2 shown]
	v_mul_f64 v[242:243], v[12:13], s[56:57]
	v_mul_f64 v[141:142], v[20:21], s[52:53]
	v_fma_f64 v[83:84], v[79:80], s[20:21], -v[0:1]
	v_mul_f64 v[0:1], v[10:11], s[30:31]
	s_delay_alu instid0(VALU_DEP_2)
	v_add_f64 v[30:31], v[83:84], v[30:31]
	v_add_f64 v[83:84], v[252:253], v[153:154]
	scratch_store_b64 off, v[0:1], off offset:528 ; 8-byte Folded Spill
	v_mul_f64 v[252:253], v[16:17], s[36:37]
	v_fma_f64 v[87:88], v[83:84], s[24:25], v[0:1]
	v_mul_f64 v[0:1], v[8:9], s[30:31]
	s_delay_alu instid0(VALU_DEP_2)
	v_add_f64 v[28:29], v[87:88], v[28:29]
	v_add_f64 v[87:88], v[250:251], v[144:145]
	s_clause 0x4
	scratch_store_b64 off, v[0:1], off offset:536
	scratch_store_b64 off, v[170:171], off offset:432
	scratch_store_b64 off, v[159:160], off offset:400
	scratch_store_b64 off, v[162:163], off offset:416
	scratch_store_b64 off, v[164:165], off offset:384
	v_mul_f64 v[250:251], v[20:21], s[30:31]
	v_mul_f64 v[145:146], v[41:42], s[40:41]
	;; [unrolled: 1-line block ×3, first 2 shown]
	v_fma_f64 v[89:90], v[87:88], s[24:25], -v[0:1]
	v_mul_f64 v[0:1], v[6:7], s[34:35]
	s_delay_alu instid0(VALU_DEP_2)
	v_add_f64 v[30:31], v[89:90], v[30:31]
	v_add_f64 v[89:90], v[162:163], v[164:165]
	scratch_store_b64 off, v[0:1], off offset:544 ; 8-byte Folded Spill
	v_mul_f64 v[163:164], v[4:5], s[46:47]
	v_mul_f64 v[161:162], v[2:3], s[48:49]
	v_fma_f64 v[91:92], v[89:90], s[6:7], v[0:1]
	v_mul_f64 v[0:1], v[4:5], s[34:35]
	s_delay_alu instid0(VALU_DEP_2)
	v_add_f64 v[28:29], v[91:92], v[28:29]
	v_add_f64 v[91:92], v[170:171], v[159:160]
	s_clause 0x4
	scratch_store_b64 off, v[0:1], off offset:552
	scratch_store_b64 off, v[138:139], off offset:480
	;; [unrolled: 1-line block ×5, first 2 shown]
	v_mul_f64 v[170:171], v[6:7], s[46:47]
	v_fma_f64 v[93:94], v[91:92], s[6:7], -v[0:1]
	v_mul_f64 v[0:1], v[2:3], s[36:37]
	s_delay_alu instid0(VALU_DEP_2)
	v_add_f64 v[30:31], v[93:94], v[30:31]
	v_add_f64 v[93:94], v[128:129], v[172:173]
	scratch_store_b64 off, v[0:1], off offset:560 ; 8-byte Folded Spill
	v_fma_f64 v[95:96], v[93:94], s[22:23], -v[0:1]
	v_add_f64 v[0:1], v[128:129], -v[172:173]
	v_mul_f64 v[172:173], v[8:9], s[52:53]
	v_fma_f64 v[208:209], v[93:94], s[10:11], -v[161:162]
	v_mul_f64 v[127:128], v[18:19], s[48:49]
	v_mul_f64 v[129:130], v[6:7], s[58:59]
	v_add_f64 v[30:31], v[95:96], v[30:31]
	v_add_f64 v[95:96], v[138:139], v[192:193]
	v_mul_f64 v[36:37], v[0:1], s[36:37]
	v_mul_f64 v[159:160], v[0:1], s[48:49]
	;; [unrolled: 1-line block ×5, first 2 shown]
	v_fma_f64 v[111:112], v[95:96], s[22:23], v[36:37]
	scratch_store_b64 off, v[36:37], off offset:568 ; 8-byte Folded Spill
	v_fma_f64 v[210:211], v[95:96], s[10:11], v[159:160]
	v_add_f64 v[28:29], v[111:112], v[28:29]
	v_mul_f64 v[111:112], v[30:31], v[105:106]
	s_delay_alu instid0(VALU_DEP_2) | instskip(NEXT) | instid1(VALU_DEP_2)
	v_mul_f64 v[105:106], v[28:29], v[105:106]
	v_fma_f64 v[38:39], v[28:29], v[218:219], -v[111:112]
	v_mul_f64 v[28:29], v[32:33], s[42:43]
	v_mul_f64 v[111:112], v[32:33], s[28:29]
	s_delay_alu instid0(VALU_DEP_4)
	v_fma_f64 v[36:37], v[30:31], v[218:219], v[105:106]
	v_mul_f64 v[30:31], v[34:35], s[40:41]
	scratch_store_b64 off, v[28:29], off offset:704 ; 8-byte Folded Spill
	v_fma_f64 v[28:29], v[61:62], s[16:17], v[28:29]
	s_clause 0x1
	scratch_store_b128 off, v[36:39], off offset:4
	scratch_store_b64 off, v[30:31], off offset:720
	v_fma_f64 v[30:31], v[63:64], s[8:9], v[30:31]
	v_add_f64 v[28:29], v[51:52], v[28:29]
	v_mul_f64 v[36:37], v[43:44], s[40:41]
	v_mul_f64 v[38:39], v[10:11], s[36:37]
	s_delay_alu instid0(VALU_DEP_3) | instskip(SKIP_1) | instid1(VALU_DEP_4)
	v_add_f64 v[28:29], v[30:31], v[28:29]
	v_mul_f64 v[30:31], v[41:42], s[42:43]
	v_fma_f64 v[105:106], v[67:68], s[8:9], -v[36:37]
	scratch_store_b64 off, v[30:31], off offset:712 ; 8-byte Folded Spill
	v_fma_f64 v[30:31], v[65:66], s[16:17], -v[30:31]
	s_delay_alu instid0(VALU_DEP_1) | instskip(NEXT) | instid1(VALU_DEP_1)
	v_add_f64 v[30:31], v[49:50], v[30:31]
	v_add_f64 v[30:31], v[105:106], v[30:31]
	v_fma_f64 v[105:106], v[69:70], s[24:25], v[244:245]
	s_delay_alu instid0(VALU_DEP_1) | instskip(SKIP_1) | instid1(VALU_DEP_1)
	v_add_f64 v[28:29], v[105:106], v[28:29]
	v_fma_f64 v[105:106], v[71:72], s[24:25], -v[250:251]
	v_add_f64 v[30:31], v[105:106], v[30:31]
	v_fma_f64 v[105:106], v[73:74], s[22:23], v[254:255]
	s_delay_alu instid0(VALU_DEP_1) | instskip(SKIP_1) | instid1(VALU_DEP_1)
	v_add_f64 v[28:29], v[105:106], v[28:29]
	v_fma_f64 v[105:106], v[75:76], s[22:23], -v[252:253]
	;; [unrolled: 5-line block ×4, first 2 shown]
	v_add_f64 v[30:31], v[105:106], v[30:31]
	v_fma_f64 v[105:106], v[89:90], s[26:27], v[170:171]
	s_delay_alu instid0(VALU_DEP_1) | instskip(SKIP_2) | instid1(VALU_DEP_3)
	v_add_f64 v[206:207], v[105:106], v[28:29]
	v_fma_f64 v[28:29], v[91:92], s[26:27], -v[163:164]
	v_mul_f64 v[105:106], v[0:1], s[46:47]
	v_add_f64 v[206:207], v[210:211], v[206:207]
	s_delay_alu instid0(VALU_DEP_3) | instskip(NEXT) | instid1(VALU_DEP_1)
	v_add_f64 v[28:29], v[28:29], v[30:31]
	v_add_f64 v[208:209], v[208:209], v[28:29]
	s_delay_alu instid0(VALU_DEP_1) | instskip(NEXT) | instid1(VALU_DEP_4)
	v_mul_f64 v[210:211], v[208:209], v[59:60]
	v_mul_f64 v[59:60], v[206:207], v[59:60]
	s_delay_alu instid0(VALU_DEP_2) | instskip(NEXT) | instid1(VALU_DEP_2)
	v_fma_f64 v[30:31], v[206:207], v[57:58], -v[210:211]
	v_fma_f64 v[28:29], v[208:209], v[57:58], v[59:60]
	scratch_store_b64 off, v[36:37], off offset:728 ; 8-byte Folded Spill
	v_fma_f64 v[208:209], v[67:68], s[20:21], -v[107:108]
	v_mul_f64 v[36:37], v[8:9], s[36:37]
	scratch_store_b128 off, v[28:31], off offset:20 ; 16-byte Folded Spill
	v_mul_f64 v[28:29], v[32:33], s[44:45]
	v_mul_f64 v[30:31], v[6:7], s[50:51]
	scratch_store_b64 off, v[28:29], off offset:584 ; 8-byte Folded Spill
	v_fma_f64 v[57:58], v[61:62], s[26:27], v[28:29]
	v_mul_f64 v[28:29], v[34:35], s[30:31]
	s_delay_alu instid0(VALU_DEP_2) | instskip(SKIP_3) | instid1(VALU_DEP_2)
	v_add_f64 v[57:58], v[51:52], v[57:58]
	scratch_store_b64 off, v[28:29], off offset:576 ; 8-byte Folded Spill
	v_fma_f64 v[59:60], v[63:64], s[24:25], v[28:29]
	v_mul_f64 v[28:29], v[41:42], s[44:45]
	v_add_f64 v[57:58], v[59:60], v[57:58]
	scratch_store_b64 off, v[28:29], off offset:624 ; 8-byte Folded Spill
	v_fma_f64 v[59:60], v[65:66], s[26:27], -v[28:29]
	v_mul_f64 v[28:29], v[43:44], s[30:31]
	s_delay_alu instid0(VALU_DEP_2) | instskip(SKIP_3) | instid1(VALU_DEP_2)
	v_add_f64 v[59:60], v[49:50], v[59:60]
	scratch_store_b64 off, v[28:29], off offset:608 ; 8-byte Folded Spill
	v_fma_f64 v[212:213], v[67:68], s[24:25], -v[28:29]
	v_mul_f64 v[28:29], v[22:23], s[62:63]
	v_add_f64 v[59:60], v[212:213], v[59:60]
	scratch_store_b64 off, v[28:29], off offset:616 ; 8-byte Folded Spill
	v_fma_f64 v[216:217], v[69:70], s[22:23], v[28:29]
	v_mul_f64 v[28:29], v[20:21], s[62:63]
	s_delay_alu instid0(VALU_DEP_2) | instskip(SKIP_3) | instid1(VALU_DEP_2)
	v_add_f64 v[57:58], v[216:217], v[57:58]
	scratch_store_b64 off, v[28:29], off offset:632 ; 8-byte Folded Spill
	v_fma_f64 v[218:219], v[71:72], s[22:23], -v[28:29]
	v_mul_f64 v[28:29], v[18:19], s[52:53]
	v_add_f64 v[59:60], v[218:219], v[59:60]
	scratch_store_b64 off, v[28:29], off offset:648 ; 8-byte Folded Spill
	v_fma_f64 v[218:219], v[73:74], s[20:21], v[28:29]
	;; [unrolled: 9-line block ×4, first 2 shown]
	v_mul_f64 v[28:29], v[8:9], s[38:39]
	v_mul_f64 v[226:227], v[4:5], s[40:41]
	s_delay_alu instid0(VALU_DEP_3) | instskip(NEXT) | instid1(VALU_DEP_3)
	v_add_f64 v[57:58], v[228:229], v[57:58]
	v_fma_f64 v[228:229], v[87:88], s[10:11], -v[28:29]
	scratch_store_b64 off, v[28:29], off offset:680 ; 8-byte Folded Spill
	v_add_f64 v[59:60], v[228:229], v[59:60]
	v_mul_f64 v[228:229], v[6:7], s[40:41]
	s_delay_alu instid0(VALU_DEP_1) | instskip(NEXT) | instid1(VALU_DEP_1)
	v_fma_f64 v[232:233], v[89:90], s[8:9], v[228:229]
	v_add_f64 v[57:58], v[232:233], v[57:58]
	v_fma_f64 v[232:233], v[91:92], s[8:9], -v[226:227]
	s_delay_alu instid0(VALU_DEP_1) | instskip(SKIP_1) | instid1(VALU_DEP_1)
	v_add_f64 v[59:60], v[232:233], v[59:60]
	v_mul_f64 v[232:233], v[2:3], s[34:35]
	v_fma_f64 v[236:237], v[93:94], s[6:7], -v[232:233]
	s_delay_alu instid0(VALU_DEP_1) | instskip(SKIP_1) | instid1(VALU_DEP_1)
	v_add_f64 v[59:60], v[236:237], v[59:60]
	v_mul_f64 v[236:237], v[0:1], s[34:35]
	v_fma_f64 v[176:177], v[95:96], s[6:7], v[236:237]
	s_delay_alu instid0(VALU_DEP_1) | instskip(NEXT) | instid1(VALU_DEP_4)
	v_add_f64 v[57:58], v[176:177], v[57:58]
	v_mul_f64 v[176:177], v[59:60], v[24:25]
	s_delay_alu instid0(VALU_DEP_2) | instskip(NEXT) | instid1(VALU_DEP_2)
	v_mul_f64 v[24:25], v[57:58], v[24:25]
	v_fma_f64 v[28:29], v[57:58], v[26:27], -v[176:177]
	v_mul_f64 v[176:177], v[32:33], s[40:41]
	v_fma_f64 v[57:58], v[63:64], s[22:23], v[139:140]
	s_delay_alu instid0(VALU_DEP_4) | instskip(SKIP_1) | instid1(VALU_DEP_4)
	v_fma_f64 v[26:27], v[59:60], v[26:27], v[24:25]
	v_fma_f64 v[59:60], v[67:68], s[22:23], -v[143:144]
	v_fma_f64 v[24:25], v[61:62], s[8:9], v[176:177]
	scratch_store_b128 off, v[26:29], off offset:36 ; 16-byte Folded Spill
	v_mul_f64 v[28:29], v[4:5], s[50:51]
	v_add_f64 v[24:25], v[51:52], v[24:25]
	s_delay_alu instid0(VALU_DEP_1) | instskip(SKIP_1) | instid1(VALU_DEP_1)
	v_add_f64 v[24:25], v[57:58], v[24:25]
	v_fma_f64 v[57:58], v[65:66], s[8:9], -v[145:146]
	v_add_f64 v[57:58], v[49:50], v[57:58]
	s_delay_alu instid0(VALU_DEP_1) | instskip(SKIP_1) | instid1(VALU_DEP_1)
	v_add_f64 v[57:58], v[59:60], v[57:58]
	v_fma_f64 v[59:60], v[69:70], s[20:21], v[133:134]
	v_add_f64 v[24:25], v[59:60], v[24:25]
	v_fma_f64 v[59:60], v[71:72], s[20:21], -v[141:142]
	s_delay_alu instid0(VALU_DEP_1) | instskip(SKIP_1) | instid1(VALU_DEP_1)
	v_add_f64 v[57:58], v[59:60], v[57:58]
	v_fma_f64 v[59:60], v[73:74], s[10:11], v[127:128]
	v_add_f64 v[24:25], v[59:60], v[24:25]
	v_fma_f64 v[59:60], v[75:76], s[10:11], -v[137:138]
	;; [unrolled: 5-line block ×5, first 2 shown]
	s_delay_alu instid0(VALU_DEP_1) | instskip(SKIP_1) | instid1(VALU_DEP_1)
	v_add_f64 v[57:58], v[59:60], v[57:58]
	v_fma_f64 v[59:60], v[93:94], s[16:17], -v[123:124]
	v_add_f64 v[57:58], v[59:60], v[57:58]
	v_fma_f64 v[59:60], v[95:96], s[16:17], v[121:122]
	s_delay_alu instid0(VALU_DEP_1) | instskip(NEXT) | instid1(VALU_DEP_3)
	v_add_f64 v[24:25], v[59:60], v[24:25]
	v_mul_f64 v[59:60], v[57:58], v[81:82]
	s_delay_alu instid0(VALU_DEP_2) | instskip(NEXT) | instid1(VALU_DEP_2)
	v_mul_f64 v[81:82], v[24:25], v[81:82]
	v_fma_f64 v[26:27], v[24:25], v[85:86], -v[59:60]
	v_fma_f64 v[59:60], v[63:64], s[6:7], v[109:110]
	s_delay_alu instid0(VALU_DEP_3)
	v_fma_f64 v[24:25], v[57:58], v[85:86], v[81:82]
	v_fma_f64 v[57:58], v[61:62], s[20:21], v[111:112]
	v_mul_f64 v[85:86], v[43:44], s[46:47]
	v_mul_f64 v[81:82], v[22:23], s[40:41]
	scratch_store_b128 off, v[24:27], off offset:52 ; 16-byte Folded Spill
	v_add_f64 v[57:58], v[51:52], v[57:58]
	s_delay_alu instid0(VALU_DEP_1) | instskip(SKIP_1) | instid1(VALU_DEP_1)
	v_add_f64 v[57:58], v[59:60], v[57:58]
	v_fma_f64 v[59:60], v[65:66], s[20:21], -v[115:116]
	v_add_f64 v[59:60], v[49:50], v[59:60]
	s_delay_alu instid0(VALU_DEP_1) | instskip(SKIP_1) | instid1(VALU_DEP_1)
	v_add_f64 v[59:60], v[178:179], v[59:60]
	v_mul_f64 v[178:179], v[22:23], s[50:51]
	v_fma_f64 v[180:181], v[69:70], s[16:17], v[178:179]
	s_delay_alu instid0(VALU_DEP_1) | instskip(SKIP_1) | instid1(VALU_DEP_1)
	v_add_f64 v[57:58], v[180:181], v[57:58]
	v_mul_f64 v[180:181], v[20:21], s[50:51]
	v_fma_f64 v[182:183], v[71:72], s[16:17], -v[180:181]
	s_delay_alu instid0(VALU_DEP_1) | instskip(SKIP_1) | instid1(VALU_DEP_1)
	v_add_f64 v[59:60], v[182:183], v[59:60]
	v_mul_f64 v[182:183], v[18:19], s[44:45]
	v_fma_f64 v[184:185], v[73:74], s[26:27], v[182:183]
	s_delay_alu instid0(VALU_DEP_1) | instskip(SKIP_1) | instid1(VALU_DEP_1)
	v_add_f64 v[57:58], v[184:185], v[57:58]
	v_mul_f64 v[184:185], v[16:17], s[44:45]
	v_fma_f64 v[186:187], v[75:76], s[26:27], -v[184:185]
	;; [unrolled: 8-line block ×5, first 2 shown]
	s_delay_alu instid0(VALU_DEP_1) | instskip(SKIP_1) | instid1(VALU_DEP_1)
	v_add_f64 v[59:60], v[202:203], v[59:60]
	v_mul_f64 v[202:203], v[2:3], s[30:31]
	v_fma_f64 v[204:205], v[93:94], s[24:25], -v[202:203]
	s_delay_alu instid0(VALU_DEP_1) | instskip(SKIP_1) | instid1(VALU_DEP_1)
	v_add_f64 v[59:60], v[204:205], v[59:60]
	v_mul_f64 v[204:205], v[0:1], s[30:31]
	v_fma_f64 v[206:207], v[95:96], s[24:25], v[204:205]
	s_delay_alu instid0(VALU_DEP_1) | instskip(NEXT) | instid1(VALU_DEP_4)
	v_add_f64 v[57:58], v[206:207], v[57:58]
	v_mul_f64 v[206:207], v[59:60], v[168:169]
	s_delay_alu instid0(VALU_DEP_2) | instskip(NEXT) | instid1(VALU_DEP_2)
	v_mul_f64 v[168:169], v[57:58], v[168:169]
	v_fma_f64 v[26:27], v[57:58], v[166:167], -v[206:207]
	v_mul_f64 v[206:207], v[32:33], s[30:31]
	s_delay_alu instid0(VALU_DEP_3) | instskip(SKIP_1) | instid1(VALU_DEP_3)
	v_fma_f64 v[24:25], v[59:60], v[166:167], v[168:169]
	v_mul_f64 v[166:167], v[34:35], s[52:53]
	v_fma_f64 v[57:58], v[61:62], s[24:25], v[206:207]
	v_mul_f64 v[168:169], v[41:42], s[30:31]
	v_mul_f64 v[34:35], v[34:35], s[48:49]
	;; [unrolled: 1-line block ×4, first 2 shown]
	scratch_store_b128 off, v[24:27], off offset:68 ; 16-byte Folded Spill
	v_fma_f64 v[59:60], v[63:64], s[20:21], v[166:167]
	v_add_f64 v[57:58], v[51:52], v[57:58]
	s_delay_alu instid0(VALU_DEP_1) | instskip(SKIP_1) | instid1(VALU_DEP_1)
	v_add_f64 v[57:58], v[59:60], v[57:58]
	v_fma_f64 v[59:60], v[65:66], s[24:25], -v[168:169]
	v_add_f64 v[59:60], v[49:50], v[59:60]
	s_delay_alu instid0(VALU_DEP_1) | instskip(SKIP_2) | instid1(VALU_DEP_2)
	v_add_f64 v[59:60], v[208:209], v[59:60]
	v_mul_f64 v[208:209], v[22:23], s[38:39]
	v_mul_f64 v[22:23], v[22:23], s[34:35]
	v_fma_f64 v[192:193], v[69:70], s[10:11], v[208:209]
	s_delay_alu instid0(VALU_DEP_1) | instskip(SKIP_1) | instid1(VALU_DEP_1)
	v_add_f64 v[57:58], v[192:193], v[57:58]
	v_mul_f64 v[192:193], v[20:21], s[38:39]
	v_fma_f64 v[194:195], v[71:72], s[10:11], -v[192:193]
	s_delay_alu instid0(VALU_DEP_1) | instskip(SKIP_2) | instid1(VALU_DEP_2)
	v_add_f64 v[59:60], v[194:195], v[59:60]
	v_mul_f64 v[194:195], v[18:19], s[34:35]
	v_mul_f64 v[18:19], v[18:19], s[50:51]
	v_fma_f64 v[210:211], v[73:74], s[6:7], v[194:195]
	s_delay_alu instid0(VALU_DEP_1) | instskip(SKIP_2) | instid1(VALU_DEP_2)
	v_add_f64 v[57:58], v[210:211], v[57:58]
	v_mul_f64 v[210:211], v[16:17], s[34:35]
	v_mul_f64 v[16:17], v[16:17], s[50:51]
	v_fma_f64 v[212:213], v[75:76], s[6:7], -v[210:211]
	s_delay_alu instid0(VALU_DEP_1) | instskip(SKIP_2) | instid1(VALU_DEP_2)
	v_add_f64 v[59:60], v[212:213], v[59:60]
	v_mul_f64 v[212:213], v[14:15], s[54:55]
	v_mul_f64 v[14:15], v[14:15], s[30:31]
	v_fma_f64 v[214:215], v[77:78], s[8:9], v[212:213]
	s_delay_alu instid0(VALU_DEP_1) | instskip(SKIP_2) | instid1(VALU_DEP_2)
	v_add_f64 v[57:58], v[214:215], v[57:58]
	v_mul_f64 v[214:215], v[12:13], s[54:55]
	v_mul_f64 v[12:13], v[12:13], s[30:31]
	v_fma_f64 v[216:217], v[79:80], s[8:9], -v[214:215]
	s_delay_alu instid0(VALU_DEP_1) | instskip(SKIP_2) | instid1(VALU_DEP_2)
	v_add_f64 v[59:60], v[216:217], v[59:60]
	v_mul_f64 v[216:217], v[10:11], s[42:43]
	v_mul_f64 v[10:11], v[10:11], s[46:47]
	v_fma_f64 v[218:219], v[83:84], s[16:17], v[216:217]
	s_delay_alu instid0(VALU_DEP_1) | instskip(SKIP_2) | instid1(VALU_DEP_2)
	v_add_f64 v[57:58], v[218:219], v[57:58]
	v_mul_f64 v[218:219], v[8:9], s[42:43]
	v_mul_f64 v[8:9], v[8:9], s[46:47]
	v_fma_f64 v[220:221], v[87:88], s[16:17], -v[218:219]
	s_delay_alu instid0(VALU_DEP_1) | instskip(SKIP_2) | instid1(VALU_DEP_2)
	v_add_f64 v[59:60], v[220:221], v[59:60]
	v_mul_f64 v[220:221], v[6:7], s[36:37]
	v_mul_f64 v[6:7], v[6:7], s[28:29]
	v_fma_f64 v[222:223], v[89:90], s[22:23], v[220:221]
	s_delay_alu instid0(VALU_DEP_1) | instskip(SKIP_2) | instid1(VALU_DEP_2)
	v_add_f64 v[57:58], v[222:223], v[57:58]
	v_mul_f64 v[222:223], v[4:5], s[36:37]
	v_mul_f64 v[4:5], v[4:5], s[28:29]
	v_fma_f64 v[153:154], v[91:92], s[22:23], -v[222:223]
	s_delay_alu instid0(VALU_DEP_1) | instskip(SKIP_1) | instid1(VALU_DEP_1)
	v_add_f64 v[59:60], v[153:154], v[59:60]
	v_mul_f64 v[153:154], v[2:3], s[46:47]
	v_fma_f64 v[224:225], v[93:94], s[26:27], -v[153:154]
	s_delay_alu instid0(VALU_DEP_1) | instskip(SKIP_1) | instid1(VALU_DEP_1)
	v_add_f64 v[224:225], v[224:225], v[59:60]
	v_fma_f64 v[59:60], v[95:96], s[26:27], v[105:106]
	v_add_f64 v[57:58], v[59:60], v[57:58]
	s_delay_alu instid0(VALU_DEP_3) | instskip(NEXT) | instid1(VALU_DEP_2)
	v_mul_f64 v[59:60], v[224:225], v[97:98]
	v_mul_f64 v[97:98], v[57:58], v[97:98]
	s_delay_alu instid0(VALU_DEP_2)
	v_fma_f64 v[26:27], v[57:58], v[99:100], -v[59:60]
	v_fma_f64 v[57:58], v[67:68], s[26:27], -v[85:86]
	v_mul_f64 v[59:60], v[20:21], s[40:41]
	v_mul_f64 v[20:21], v[20:21], s[34:35]
	v_fma_f64 v[24:25], v[224:225], v[99:100], v[97:98]
	v_mul_f64 v[224:225], v[32:33], s[34:35]
	v_fma_f64 v[99:100], v[63:64], s[26:27], v[103:104]
	v_mul_f64 v[32:33], v[32:33], s[36:37]
	scratch_store_b128 off, v[24:27], off offset:92 ; 16-byte Folded Spill
	v_fma_f64 v[97:98], v[61:62], s[6:7], v[224:225]
	v_mul_f64 v[26:27], v[2:3], s[28:29]
	v_mul_f64 v[24:25], v[0:1], s[28:29]
	;; [unrolled: 1-line block ×4, first 2 shown]
	v_add_f64 v[97:98], v[51:52], v[97:98]
	s_delay_alu instid0(VALU_DEP_1) | instskip(SKIP_1) | instid1(VALU_DEP_1)
	v_add_f64 v[97:98], v[99:100], v[97:98]
	v_fma_f64 v[99:100], v[65:66], s[6:7], -v[101:102]
	v_add_f64 v[99:100], v[49:50], v[99:100]
	s_delay_alu instid0(VALU_DEP_1) | instskip(SKIP_1) | instid1(VALU_DEP_1)
	v_add_f64 v[57:58], v[57:58], v[99:100]
	v_fma_f64 v[99:100], v[69:70], s[8:9], v[81:82]
	v_add_f64 v[97:98], v[99:100], v[97:98]
	v_fma_f64 v[99:100], v[71:72], s[8:9], -v[59:60]
	s_delay_alu instid0(VALU_DEP_1) | instskip(SKIP_1) | instid1(VALU_DEP_1)
	v_add_f64 v[57:58], v[99:100], v[57:58]
	v_fma_f64 v[99:100], v[73:74], s[24:25], v[55:56]
	v_add_f64 v[97:98], v[99:100], v[97:98]
	v_fma_f64 v[99:100], v[75:76], s[24:25], -v[53:54]
	;; [unrolled: 5-line block ×5, first 2 shown]
	s_delay_alu instid0(VALU_DEP_1) | instskip(SKIP_1) | instid1(VALU_DEP_1)
	v_add_f64 v[57:58], v[99:100], v[57:58]
	v_fma_f64 v[99:100], v[93:94], s[20:21], -v[26:27]
	v_add_f64 v[57:58], v[99:100], v[57:58]
	v_fma_f64 v[99:100], v[95:96], s[20:21], v[24:25]
	s_delay_alu instid0(VALU_DEP_1) | instskip(NEXT) | instid1(VALU_DEP_3)
	v_add_f64 v[97:98], v[99:100], v[97:98]
	v_mul_f64 v[99:100], v[57:58], v[149:150]
	s_delay_alu instid0(VALU_DEP_2) | instskip(NEXT) | instid1(VALU_DEP_2)
	v_mul_f64 v[149:150], v[97:98], v[149:150]
	v_fma_f64 v[99:100], v[97:98], v[147:148], -v[99:100]
	s_delay_alu instid0(VALU_DEP_2)
	v_fma_f64 v[97:98], v[57:58], v[147:148], v[149:150]
	v_fma_f64 v[57:58], v[61:62], s[22:23], v[32:33]
	;; [unrolled: 1-line block ×3, first 2 shown]
	v_fma_f64 v[149:150], v[67:68], s[10:11], -v[42:43]
	v_fma_f64 v[32:33], v[61:62], s[22:23], -v[32:33]
	;; [unrolled: 1-line block ×3, first 2 shown]
	v_add_f64 v[57:58], v[51:52], v[57:58]
	s_delay_alu instid0(VALU_DEP_3) | instskip(NEXT) | instid1(VALU_DEP_2)
	v_add_f64 v[32:33], v[51:52], v[32:33]
	v_add_f64 v[57:58], v[147:148], v[57:58]
	v_fma_f64 v[147:148], v[65:66], s[22:23], -v[40:41]
	s_delay_alu instid0(VALU_DEP_3) | instskip(SKIP_2) | instid1(VALU_DEP_4)
	v_add_f64 v[32:33], v[34:35], v[32:33]
	v_fma_f64 v[34:35], v[65:66], s[22:23], v[40:41]
	v_fma_f64 v[40:41], v[67:68], s[10:11], v[42:43]
	v_add_f64 v[147:148], v[49:50], v[147:148]
	s_delay_alu instid0(VALU_DEP_3) | instskip(NEXT) | instid1(VALU_DEP_2)
	v_add_f64 v[34:35], v[49:50], v[34:35]
	v_add_f64 v[147:148], v[149:150], v[147:148]
	v_fma_f64 v[149:150], v[69:70], s[6:7], v[22:23]
	v_fma_f64 v[22:23], v[69:70], s[6:7], -v[22:23]
	s_delay_alu instid0(VALU_DEP_4) | instskip(NEXT) | instid1(VALU_DEP_3)
	v_add_f64 v[34:35], v[40:41], v[34:35]
	v_add_f64 v[57:58], v[149:150], v[57:58]
	v_fma_f64 v[149:150], v[71:72], s[6:7], -v[20:21]
	v_fma_f64 v[20:21], v[71:72], s[6:7], v[20:21]
	v_add_f64 v[22:23], v[22:23], v[32:33]
	s_delay_alu instid0(VALU_DEP_3) | instskip(SKIP_1) | instid1(VALU_DEP_4)
	v_add_f64 v[147:148], v[149:150], v[147:148]
	v_fma_f64 v[149:150], v[73:74], s[16:17], v[18:19]
	v_add_f64 v[20:21], v[20:21], v[34:35]
	v_fma_f64 v[18:19], v[73:74], s[16:17], -v[18:19]
	s_delay_alu instid0(VALU_DEP_3) | instskip(SKIP_2) | instid1(VALU_DEP_4)
	v_add_f64 v[57:58], v[149:150], v[57:58]
	v_fma_f64 v[149:150], v[75:76], s[16:17], -v[16:17]
	v_fma_f64 v[16:17], v[75:76], s[16:17], v[16:17]
	v_add_f64 v[18:19], v[18:19], v[22:23]
	s_delay_alu instid0(VALU_DEP_3) | instskip(SKIP_1) | instid1(VALU_DEP_4)
	v_add_f64 v[147:148], v[149:150], v[147:148]
	v_fma_f64 v[149:150], v[77:78], s[24:25], v[14:15]
	v_add_f64 v[16:17], v[16:17], v[20:21]
	v_fma_f64 v[14:15], v[77:78], s[24:25], -v[14:15]
	s_delay_alu instid0(VALU_DEP_3) | instskip(SKIP_2) | instid1(VALU_DEP_4)
	;; [unrolled: 10-line block ×3, first 2 shown]
	v_add_f64 v[57:58], v[149:150], v[57:58]
	v_fma_f64 v[149:150], v[87:88], s[26:27], -v[8:9]
	v_fma_f64 v[8:9], v[87:88], s[26:27], v[8:9]
	v_add_f64 v[10:11], v[10:11], v[14:15]
	scratch_load_b64 v[14:15], off, off offset:180 ; 8-byte Folded Reload
	v_add_f64 v[147:148], v[149:150], v[147:148]
	v_fma_f64 v[149:150], v[89:90], s[20:21], v[6:7]
	v_add_f64 v[8:9], v[8:9], v[12:13]
	v_fma_f64 v[6:7], v[89:90], s[20:21], -v[6:7]
	s_delay_alu instid0(VALU_DEP_3) | instskip(SKIP_2) | instid1(VALU_DEP_4)
	v_add_f64 v[57:58], v[149:150], v[57:58]
	v_fma_f64 v[149:150], v[91:92], s[20:21], -v[4:5]
	v_fma_f64 v[4:5], v[91:92], s[20:21], v[4:5]
	v_add_f64 v[6:7], v[6:7], v[10:11]
	scratch_load_b64 v[10:11], off, off offset:188 ; 8-byte Folded Reload
	v_add_f64 v[147:148], v[149:150], v[147:148]
	v_fma_f64 v[149:150], v[93:94], s[8:9], -v[2:3]
	v_add_f64 v[4:5], v[4:5], v[8:9]
	v_fma_f64 v[2:3], v[93:94], s[8:9], v[2:3]
	scratch_load_b64 v[8:9], off, off offset:688 ; 8-byte Folded Reload
	v_add_f64 v[147:148], v[149:150], v[147:148]
	v_fma_f64 v[149:150], v[95:96], s[8:9], v[0:1]
	v_add_f64 v[2:3], v[2:3], v[4:5]
	v_fma_f64 v[0:1], v[95:96], s[8:9], -v[0:1]
	s_delay_alu instid0(VALU_DEP_3) | instskip(NEXT) | instid1(VALU_DEP_3)
	v_add_f64 v[57:58], v[149:150], v[57:58]
	v_mul_f64 v[4:5], v[2:3], v[157:158]
	s_delay_alu instid0(VALU_DEP_3) | instskip(SKIP_1) | instid1(VALU_DEP_4)
	v_add_f64 v[0:1], v[0:1], v[6:7]
	v_mul_f64 v[149:150], v[147:148], v[151:152]
	v_mul_f64 v[151:152], v[57:58], v[151:152]
	s_delay_alu instid0(VALU_DEP_3)
	v_mul_f64 v[6:7], v[0:1], v[157:158]
	v_fma_f64 v[18:19], v[0:1], v[155:156], -v[4:5]
	v_fma_f64 v[0:1], v[61:62], s[6:7], -v[224:225]
	v_fma_f64 v[4:5], v[67:68], s[26:27], v[85:86]
	v_fma_f64 v[149:150], v[57:58], v[190:191], -v[149:150]
	v_fma_f64 v[147:148], v[147:148], v[190:191], v[151:152]
	v_fma_f64 v[16:17], v[2:3], v[155:156], v[6:7]
	v_fma_f64 v[2:3], v[63:64], s[26:27], -v[103:104]
	v_add_f64 v[0:1], v[51:52], v[0:1]
	s_delay_alu instid0(VALU_DEP_1) | instskip(SKIP_1) | instid1(VALU_DEP_1)
	v_add_f64 v[0:1], v[2:3], v[0:1]
	v_fma_f64 v[2:3], v[65:66], s[6:7], v[101:102]
	v_add_f64 v[2:3], v[49:50], v[2:3]
	s_delay_alu instid0(VALU_DEP_1) | instskip(SKIP_1) | instid1(VALU_DEP_1)
	v_add_f64 v[2:3], v[4:5], v[2:3]
	v_fma_f64 v[4:5], v[69:70], s[8:9], -v[81:82]
	v_add_f64 v[0:1], v[4:5], v[0:1]
	v_fma_f64 v[4:5], v[71:72], s[8:9], v[59:60]
	s_delay_alu instid0(VALU_DEP_1) | instskip(SKIP_1) | instid1(VALU_DEP_1)
	v_add_f64 v[2:3], v[4:5], v[2:3]
	v_fma_f64 v[4:5], v[73:74], s[24:25], -v[55:56]
	v_add_f64 v[0:1], v[4:5], v[0:1]
	v_fma_f64 v[4:5], v[75:76], s[24:25], v[53:54]
	;; [unrolled: 5-line block ×3, first 2 shown]
	s_delay_alu instid0(VALU_DEP_1)
	v_add_f64 v[2:3], v[4:5], v[2:3]
	v_fma_f64 v[4:5], v[83:84], s[22:23], -v[38:39]
	scratch_load_b64 v[38:39], off, off offset:680 ; 8-byte Folded Reload
	v_add_f64 v[0:1], v[4:5], v[0:1]
	v_fma_f64 v[4:5], v[87:88], s[22:23], v[36:37]
	scratch_load_b64 v[36:37], off, off offset:672 ; 8-byte Folded Reload
	v_add_f64 v[2:3], v[4:5], v[2:3]
	v_fma_f64 v[4:5], v[89:90], s[16:17], -v[30:31]
	scratch_load_b64 v[30:31], off, off offset:608 ; 8-byte Folded Reload
	v_add_f64 v[0:1], v[4:5], v[0:1]
	v_fma_f64 v[4:5], v[91:92], s[16:17], v[28:29]
	scratch_load_b64 v[28:29], off, off offset:124 ; 8-byte Folded Reload
	v_add_f64 v[2:3], v[4:5], v[2:3]
	v_fma_f64 v[4:5], v[93:94], s[20:21], v[26:27]
	scratch_load_b64 v[26:27], off, off offset:132 ; 8-byte Folded Reload
	v_add_f64 v[2:3], v[4:5], v[2:3]
	v_fma_f64 v[4:5], v[95:96], s[20:21], -v[24:25]
	s_delay_alu instid0(VALU_DEP_1) | instskip(NEXT) | instid1(VALU_DEP_3)
	v_add_f64 v[0:1], v[4:5], v[0:1]
	v_mul_f64 v[4:5], v[2:3], v[248:249]
	s_delay_alu instid0(VALU_DEP_2) | instskip(NEXT) | instid1(VALU_DEP_2)
	v_mul_f64 v[6:7], v[0:1], v[248:249]
	v_fma_f64 v[22:23], v[0:1], v[246:247], -v[4:5]
	v_fma_f64 v[0:1], v[61:62], s[24:25], -v[206:207]
	v_fma_f64 v[4:5], v[67:68], s[20:21], v[107:108]
	s_delay_alu instid0(VALU_DEP_4) | instskip(SKIP_1) | instid1(VALU_DEP_4)
	v_fma_f64 v[20:21], v[2:3], v[246:247], v[6:7]
	v_fma_f64 v[2:3], v[63:64], s[20:21], -v[166:167]
	v_add_f64 v[0:1], v[51:52], v[0:1]
	scratch_load_b64 v[6:7], off, off offset:696 ; 8-byte Folded Reload
	s_waitcnt vmcnt(5)
	v_fma_f64 v[38:39], v[87:88], s[10:11], v[38:39]
	v_add_f64 v[0:1], v[2:3], v[0:1]
	v_fma_f64 v[2:3], v[69:70], s[10:11], -v[208:209]
	s_waitcnt vmcnt(4)
	v_fma_f64 v[36:37], v[83:84], s[10:11], -v[36:37]
	s_delay_alu instid0(VALU_DEP_2) | instskip(SKIP_3) | instid1(VALU_DEP_2)
	v_add_f64 v[0:1], v[2:3], v[0:1]
	v_fma_f64 v[2:3], v[73:74], s[6:7], -v[194:195]
	s_waitcnt vmcnt(3)
	v_fma_f64 v[30:31], v[67:68], s[24:25], v[30:31]
	v_add_f64 v[0:1], v[2:3], v[0:1]
	v_fma_f64 v[2:3], v[77:78], s[8:9], -v[212:213]
	s_delay_alu instid0(VALU_DEP_1) | instskip(SKIP_1) | instid1(VALU_DEP_1)
	v_add_f64 v[0:1], v[2:3], v[0:1]
	v_fma_f64 v[2:3], v[83:84], s[16:17], -v[216:217]
	v_add_f64 v[0:1], v[2:3], v[0:1]
	v_fma_f64 v[2:3], v[89:90], s[22:23], -v[220:221]
	s_delay_alu instid0(VALU_DEP_1) | instskip(SKIP_1) | instid1(VALU_DEP_1)
	v_add_f64 v[0:1], v[2:3], v[0:1]
	v_fma_f64 v[2:3], v[65:66], s[24:25], v[168:169]
	v_add_f64 v[2:3], v[49:50], v[2:3]
	s_delay_alu instid0(VALU_DEP_1) | instskip(SKIP_1) | instid1(VALU_DEP_1)
	v_add_f64 v[2:3], v[4:5], v[2:3]
	v_fma_f64 v[4:5], v[71:72], s[10:11], v[192:193]
	v_add_f64 v[2:3], v[4:5], v[2:3]
	v_fma_f64 v[4:5], v[75:76], s[6:7], v[210:211]
	s_delay_alu instid0(VALU_DEP_1) | instskip(SKIP_1) | instid1(VALU_DEP_1)
	v_add_f64 v[2:3], v[4:5], v[2:3]
	v_fma_f64 v[4:5], v[79:80], s[8:9], v[214:215]
	v_add_f64 v[2:3], v[4:5], v[2:3]
	v_fma_f64 v[4:5], v[87:88], s[16:17], v[218:219]
	;; [unrolled: 5-line block ×3, first 2 shown]
	s_delay_alu instid0(VALU_DEP_1) | instskip(SKIP_1) | instid1(VALU_DEP_1)
	v_add_f64 v[2:3], v[4:5], v[2:3]
	v_fma_f64 v[4:5], v[95:96], s[26:27], -v[105:106]
	v_add_f64 v[0:1], v[4:5], v[0:1]
	s_waitcnt vmcnt(0)
	s_delay_alu instid0(VALU_DEP_3) | instskip(NEXT) | instid1(VALU_DEP_2)
	v_mul_f64 v[4:5], v[2:3], v[6:7]
	v_mul_f64 v[6:7], v[0:1], v[6:7]
	s_delay_alu instid0(VALU_DEP_2) | instskip(SKIP_2) | instid1(VALU_DEP_4)
	v_fma_f64 v[43:44], v[0:1], v[8:9], -v[4:5]
	v_fma_f64 v[0:1], v[61:62], s[20:21], -v[111:112]
	v_fma_f64 v[4:5], v[67:68], s[6:7], v[113:114]
	v_fma_f64 v[41:42], v[2:3], v[8:9], v[6:7]
	v_fma_f64 v[2:3], v[63:64], s[6:7], -v[109:110]
	s_delay_alu instid0(VALU_DEP_4)
	v_add_f64 v[0:1], v[51:52], v[0:1]
	s_clause 0x1
	scratch_load_b64 v[6:7], off, off offset:600
	scratch_load_b64 v[8:9], off, off offset:592
	v_add_f64 v[0:1], v[2:3], v[0:1]
	v_fma_f64 v[2:3], v[69:70], s[16:17], -v[178:179]
	s_delay_alu instid0(VALU_DEP_1) | instskip(SKIP_1) | instid1(VALU_DEP_1)
	v_add_f64 v[0:1], v[2:3], v[0:1]
	v_fma_f64 v[2:3], v[73:74], s[26:27], -v[182:183]
	v_add_f64 v[0:1], v[2:3], v[0:1]
	v_fma_f64 v[2:3], v[77:78], s[22:23], -v[186:187]
	s_delay_alu instid0(VALU_DEP_1) | instskip(SKIP_1) | instid1(VALU_DEP_1)
	v_add_f64 v[0:1], v[2:3], v[0:1]
	v_fma_f64 v[2:3], v[83:84], s[8:9], -v[174:175]
	v_add_f64 v[0:1], v[2:3], v[0:1]
	v_fma_f64 v[2:3], v[89:90], s[10:11], -v[198:199]
	s_delay_alu instid0(VALU_DEP_1) | instskip(SKIP_1) | instid1(VALU_DEP_1)
	v_add_f64 v[0:1], v[2:3], v[0:1]
	v_fma_f64 v[2:3], v[65:66], s[20:21], v[115:116]
	v_add_f64 v[2:3], v[49:50], v[2:3]
	s_delay_alu instid0(VALU_DEP_1) | instskip(SKIP_1) | instid1(VALU_DEP_1)
	v_add_f64 v[2:3], v[4:5], v[2:3]
	v_fma_f64 v[4:5], v[71:72], s[16:17], v[180:181]
	v_add_f64 v[2:3], v[4:5], v[2:3]
	v_fma_f64 v[4:5], v[75:76], s[26:27], v[184:185]
	s_delay_alu instid0(VALU_DEP_1) | instskip(SKIP_1) | instid1(VALU_DEP_1)
	v_add_f64 v[2:3], v[4:5], v[2:3]
	v_fma_f64 v[4:5], v[79:80], s[22:23], v[188:189]
	v_add_f64 v[2:3], v[4:5], v[2:3]
	v_fma_f64 v[4:5], v[87:88], s[8:9], v[196:197]
	;; [unrolled: 5-line block ×3, first 2 shown]
	s_delay_alu instid0(VALU_DEP_1) | instskip(SKIP_1) | instid1(VALU_DEP_1)
	v_add_f64 v[2:3], v[4:5], v[2:3]
	v_fma_f64 v[4:5], v[95:96], s[24:25], -v[204:205]
	v_add_f64 v[0:1], v[4:5], v[0:1]
	s_waitcnt vmcnt(1)
	s_delay_alu instid0(VALU_DEP_3) | instskip(NEXT) | instid1(VALU_DEP_2)
	v_mul_f64 v[4:5], v[2:3], v[6:7]
	v_mul_f64 v[6:7], v[0:1], v[6:7]
	s_waitcnt vmcnt(0)
	s_delay_alu instid0(VALU_DEP_2) | instskip(SKIP_2) | instid1(VALU_DEP_4)
	v_fma_f64 v[34:35], v[0:1], v[8:9], -v[4:5]
	v_fma_f64 v[0:1], v[61:62], s[8:9], -v[176:177]
	v_fma_f64 v[4:5], v[67:68], s[22:23], v[143:144]
	v_fma_f64 v[32:33], v[2:3], v[8:9], v[6:7]
	v_fma_f64 v[2:3], v[63:64], s[22:23], -v[139:140]
	s_delay_alu instid0(VALU_DEP_4)
	v_add_f64 v[0:1], v[51:52], v[0:1]
	s_clause 0x1
	scratch_load_b64 v[6:7], off, off offset:520
	scratch_load_b64 v[8:9], off, off offset:512
	v_add_f64 v[0:1], v[2:3], v[0:1]
	v_fma_f64 v[2:3], v[69:70], s[20:21], -v[133:134]
	s_delay_alu instid0(VALU_DEP_1) | instskip(SKIP_1) | instid1(VALU_DEP_1)
	v_add_f64 v[0:1], v[2:3], v[0:1]
	v_fma_f64 v[2:3], v[73:74], s[10:11], -v[127:128]
	v_add_f64 v[0:1], v[2:3], v[0:1]
	v_fma_f64 v[2:3], v[77:78], s[26:27], -v[119:120]
	s_delay_alu instid0(VALU_DEP_1) | instskip(SKIP_1) | instid1(VALU_DEP_1)
	v_add_f64 v[0:1], v[2:3], v[0:1]
	v_fma_f64 v[2:3], v[83:84], s[6:7], -v[117:118]
	v_add_f64 v[0:1], v[2:3], v[0:1]
	v_fma_f64 v[2:3], v[65:66], s[8:9], v[145:146]
	s_delay_alu instid0(VALU_DEP_1) | instskip(NEXT) | instid1(VALU_DEP_1)
	v_add_f64 v[2:3], v[49:50], v[2:3]
	v_add_f64 v[2:3], v[4:5], v[2:3]
	v_fma_f64 v[4:5], v[71:72], s[20:21], v[141:142]
	s_delay_alu instid0(VALU_DEP_1) | instskip(SKIP_1) | instid1(VALU_DEP_1)
	v_add_f64 v[2:3], v[4:5], v[2:3]
	v_fma_f64 v[4:5], v[75:76], s[10:11], v[137:138]
	v_add_f64 v[2:3], v[4:5], v[2:3]
	v_fma_f64 v[4:5], v[79:80], s[26:27], v[135:136]
	s_delay_alu instid0(VALU_DEP_1) | instskip(SKIP_1) | instid1(VALU_DEP_1)
	v_add_f64 v[2:3], v[4:5], v[2:3]
	v_fma_f64 v[4:5], v[87:88], s[6:7], v[131:132]
	v_add_f64 v[2:3], v[4:5], v[2:3]
	v_fma_f64 v[4:5], v[89:90], s[24:25], -v[129:130]
	s_delay_alu instid0(VALU_DEP_1) | instskip(SKIP_1) | instid1(VALU_DEP_1)
	v_add_f64 v[0:1], v[4:5], v[0:1]
	v_fma_f64 v[4:5], v[91:92], s[24:25], v[125:126]
	v_add_f64 v[2:3], v[4:5], v[2:3]
	v_fma_f64 v[4:5], v[93:94], s[16:17], v[123:124]
	s_delay_alu instid0(VALU_DEP_1) | instskip(SKIP_1) | instid1(VALU_DEP_1)
	v_add_f64 v[2:3], v[4:5], v[2:3]
	v_fma_f64 v[4:5], v[95:96], s[16:17], -v[121:122]
	v_add_f64 v[0:1], v[4:5], v[0:1]
	s_waitcnt vmcnt(1)
	s_delay_alu instid0(VALU_DEP_3) | instskip(NEXT) | instid1(VALU_DEP_2)
	v_mul_f64 v[4:5], v[2:3], v[6:7]
	v_mul_f64 v[6:7], v[0:1], v[6:7]
	s_waitcnt vmcnt(0)
	s_delay_alu instid0(VALU_DEP_2)
	v_fma_f64 v[194:195], v[0:1], v[8:9], -v[4:5]
	scratch_load_b64 v[4:5], off, off offset:116 ; 8-byte Folded Reload
	v_fma_f64 v[192:193], v[2:3], v[8:9], v[6:7]
	s_clause 0x2
	scratch_load_b64 v[2:3], off, off offset:108
	scratch_load_b64 v[6:7], off, off offset:320
	;; [unrolled: 1-line block ×3, first 2 shown]
	s_waitcnt vmcnt(2)
	v_mul_f64 v[0:1], v[2:3], v[240:241]
	s_delay_alu instid0(VALU_DEP_1)
	v_fma_f64 v[12:13], v[238:239], v[4:5], v[0:1]
	v_mul_f64 v[0:1], v[4:5], v[240:241]
	scratch_load_b64 v[4:5], off, off offset:728 ; 8-byte Folded Reload
	v_fma_f64 v[24:25], v[238:239], v[2:3], -v[0:1]
	s_clause 0x1
	scratch_load_b64 v[0:1], off, off offset:704
	scratch_load_b64 v[2:3], off, off offset:720
	s_waitcnt vmcnt(2)
	v_fma_f64 v[4:5], v[67:68], s[8:9], v[4:5]
	s_waitcnt vmcnt(1)
	v_fma_f64 v[0:1], v[61:62], s[16:17], -v[0:1]
	s_waitcnt vmcnt(0)
	v_fma_f64 v[2:3], v[63:64], s[8:9], -v[2:3]
	s_delay_alu instid0(VALU_DEP_2) | instskip(NEXT) | instid1(VALU_DEP_1)
	v_add_f64 v[0:1], v[51:52], v[0:1]
	v_add_f64 v[0:1], v[2:3], v[0:1]
	v_fma_f64 v[2:3], v[69:70], s[24:25], -v[244:245]
	s_delay_alu instid0(VALU_DEP_1) | instskip(SKIP_3) | instid1(VALU_DEP_1)
	v_add_f64 v[0:1], v[2:3], v[0:1]
	scratch_load_b64 v[2:3], off, off offset:712 ; 8-byte Folded Reload
	s_waitcnt vmcnt(0)
	v_fma_f64 v[2:3], v[65:66], s[16:17], v[2:3]
	v_add_f64 v[2:3], v[49:50], v[2:3]
	s_delay_alu instid0(VALU_DEP_1) | instskip(SKIP_1) | instid1(VALU_DEP_1)
	v_add_f64 v[2:3], v[4:5], v[2:3]
	v_fma_f64 v[4:5], v[73:74], s[22:23], -v[254:255]
	v_add_f64 v[0:1], v[4:5], v[0:1]
	v_fma_f64 v[4:5], v[71:72], s[24:25], v[250:251]
	s_delay_alu instid0(VALU_DEP_1) | instskip(SKIP_1) | instid1(VALU_DEP_1)
	v_add_f64 v[2:3], v[4:5], v[2:3]
	v_fma_f64 v[4:5], v[77:78], s[6:7], -v[234:235]
	v_add_f64 v[0:1], v[4:5], v[0:1]
	v_fma_f64 v[4:5], v[75:76], s[22:23], v[252:253]
	s_delay_alu instid0(VALU_DEP_1) | instskip(SKIP_1) | instid1(VALU_DEP_1)
	v_add_f64 v[2:3], v[4:5], v[2:3]
	v_fma_f64 v[4:5], v[79:80], s[6:7], v[242:243]
	v_add_f64 v[2:3], v[4:5], v[2:3]
	v_fma_f64 v[4:5], v[83:84], s[20:21], -v[230:231]
	s_delay_alu instid0(VALU_DEP_1) | instskip(SKIP_1) | instid1(VALU_DEP_1)
	v_add_f64 v[0:1], v[4:5], v[0:1]
	v_fma_f64 v[4:5], v[87:88], s[20:21], v[172:173]
	v_add_f64 v[2:3], v[4:5], v[2:3]
	v_fma_f64 v[4:5], v[89:90], s[26:27], -v[170:171]
	s_delay_alu instid0(VALU_DEP_1) | instskip(SKIP_1) | instid1(VALU_DEP_1)
	v_add_f64 v[0:1], v[4:5], v[0:1]
	v_fma_f64 v[4:5], v[91:92], s[26:27], v[163:164]
	v_add_f64 v[2:3], v[4:5], v[2:3]
	v_fma_f64 v[4:5], v[93:94], s[10:11], v[161:162]
	s_delay_alu instid0(VALU_DEP_1) | instskip(SKIP_1) | instid1(VALU_DEP_1)
	v_add_f64 v[4:5], v[4:5], v[2:3]
	v_fma_f64 v[2:3], v[95:96], s[10:11], -v[159:160]
	v_add_f64 v[0:1], v[2:3], v[0:1]
	s_delay_alu instid0(VALU_DEP_3) | instskip(NEXT) | instid1(VALU_DEP_2)
	v_mul_f64 v[2:3], v[4:5], v[6:7]
	v_mul_f64 v[6:7], v[0:1], v[6:7]
	s_delay_alu instid0(VALU_DEP_2) | instskip(NEXT) | instid1(VALU_DEP_2)
	v_fma_f64 v[2:3], v[0:1], v[8:9], -v[2:3]
	v_fma_f64 v[0:1], v[4:5], v[8:9], v[6:7]
	s_clause 0x2
	scratch_load_b64 v[4:5], off, off offset:352
	scratch_load_b64 v[6:7], off, off offset:368
	scratch_load_b64 v[8:9], off, off offset:408
	s_waitcnt vmcnt(2)
	v_fma_f64 v[4:5], v[61:62], s[10:11], -v[4:5]
	s_waitcnt vmcnt(1)
	v_fma_f64 v[6:7], v[63:64], s[16:17], -v[6:7]
	s_waitcnt vmcnt(0)
	v_fma_f64 v[8:9], v[67:68], s[16:17], v[8:9]
	s_delay_alu instid0(VALU_DEP_3) | instskip(NEXT) | instid1(VALU_DEP_1)
	v_add_f64 v[4:5], v[51:52], v[4:5]
	v_add_f64 v[4:5], v[6:7], v[4:5]
	scratch_load_b64 v[6:7], off, off offset:392 ; 8-byte Folded Reload
	s_waitcnt vmcnt(0)
	v_fma_f64 v[6:7], v[65:66], s[10:11], v[6:7]
	s_delay_alu instid0(VALU_DEP_1) | instskip(NEXT) | instid1(VALU_DEP_1)
	v_add_f64 v[6:7], v[49:50], v[6:7]
	v_add_f64 v[6:7], v[8:9], v[6:7]
	scratch_load_b64 v[8:9], off, off offset:424 ; 8-byte Folded Reload
	s_waitcnt vmcnt(0)
	v_fma_f64 v[8:9], v[69:70], s[26:27], -v[8:9]
	s_delay_alu instid0(VALU_DEP_1) | instskip(SKIP_3) | instid1(VALU_DEP_1)
	v_add_f64 v[4:5], v[8:9], v[4:5]
	scratch_load_b64 v[8:9], off, off offset:440 ; 8-byte Folded Reload
	s_waitcnt vmcnt(0)
	v_fma_f64 v[8:9], v[71:72], s[26:27], v[8:9]
	v_add_f64 v[6:7], v[8:9], v[6:7]
	scratch_load_b64 v[8:9], off, off offset:464 ; 8-byte Folded Reload
	s_waitcnt vmcnt(0)
	v_fma_f64 v[8:9], v[73:74], s[8:9], -v[8:9]
	s_delay_alu instid0(VALU_DEP_1) | instskip(SKIP_3) | instid1(VALU_DEP_1)
	v_add_f64 v[4:5], v[8:9], v[4:5]
	scratch_load_b64 v[8:9], off, off offset:488 ; 8-byte Folded Reload
	s_waitcnt vmcnt(0)
	v_fma_f64 v[8:9], v[75:76], s[8:9], v[8:9]
	v_add_f64 v[6:7], v[8:9], v[6:7]
	scratch_load_b64 v[8:9], off, off offset:496 ; 8-byte Folded Reload
	s_waitcnt vmcnt(0)
	v_fma_f64 v[8:9], v[77:78], s[20:21], -v[8:9]
	s_delay_alu instid0(VALU_DEP_1) | instskip(SKIP_3) | instid1(VALU_DEP_1)
	v_add_f64 v[4:5], v[8:9], v[4:5]
	scratch_load_b64 v[8:9], off, off offset:504 ; 8-byte Folded Reload
	s_waitcnt vmcnt(0)
	v_fma_f64 v[8:9], v[79:80], s[20:21], v[8:9]
	v_add_f64 v[6:7], v[8:9], v[6:7]
	scratch_load_b64 v[8:9], off, off offset:528 ; 8-byte Folded Reload
	s_waitcnt vmcnt(0)
	v_fma_f64 v[8:9], v[83:84], s[24:25], -v[8:9]
	s_delay_alu instid0(VALU_DEP_1) | instskip(SKIP_3) | instid1(VALU_DEP_1)
	v_add_f64 v[4:5], v[8:9], v[4:5]
	scratch_load_b64 v[8:9], off, off offset:536 ; 8-byte Folded Reload
	s_waitcnt vmcnt(0)
	v_fma_f64 v[8:9], v[87:88], s[24:25], v[8:9]
	v_add_f64 v[6:7], v[8:9], v[6:7]
	scratch_load_b64 v[8:9], off, off offset:544 ; 8-byte Folded Reload
	s_waitcnt vmcnt(0)
	v_fma_f64 v[8:9], v[89:90], s[6:7], -v[8:9]
	s_delay_alu instid0(VALU_DEP_1) | instskip(SKIP_3) | instid1(VALU_DEP_1)
	v_add_f64 v[4:5], v[8:9], v[4:5]
	scratch_load_b64 v[8:9], off, off offset:552 ; 8-byte Folded Reload
	s_waitcnt vmcnt(0)
	v_fma_f64 v[8:9], v[91:92], s[6:7], v[8:9]
	v_add_f64 v[6:7], v[8:9], v[6:7]
	scratch_load_b64 v[8:9], off, off offset:560 ; 8-byte Folded Reload
	s_waitcnt vmcnt(0)
	v_fma_f64 v[8:9], v[93:94], s[22:23], v[8:9]
	s_delay_alu instid0(VALU_DEP_1) | instskip(SKIP_3) | instid1(VALU_DEP_1)
	v_add_f64 v[8:9], v[8:9], v[6:7]
	scratch_load_b64 v[6:7], off, off offset:568 ; 8-byte Folded Reload
	s_waitcnt vmcnt(0)
	v_fma_f64 v[6:7], v[95:96], s[22:23], -v[6:7]
	v_add_f64 v[4:5], v[6:7], v[4:5]
	v_mul_f64 v[6:7], v[8:9], v[10:11]
	s_delay_alu instid0(VALU_DEP_2) | instskip(NEXT) | instid1(VALU_DEP_2)
	v_mul_f64 v[10:11], v[4:5], v[10:11]
	v_fma_f64 v[6:7], v[4:5], v[14:15], -v[6:7]
	s_delay_alu instid0(VALU_DEP_2)
	v_fma_f64 v[4:5], v[8:9], v[14:15], v[10:11]
	s_clause 0x2
	scratch_load_b64 v[8:9], off, off offset:224
	scratch_load_b64 v[10:11], off, off offset:248
	;; [unrolled: 1-line block ×3, first 2 shown]
	s_waitcnt vmcnt(2)
	v_add_f64 v[8:9], v[49:50], v[8:9]
	s_waitcnt vmcnt(1)
	s_delay_alu instid0(VALU_DEP_1) | instskip(SKIP_3) | instid1(VALU_DEP_1)
	v_add_f64 v[8:9], v[8:9], v[10:11]
	scratch_load_b64 v[10:11], off, off offset:204 ; 8-byte Folded Reload
	s_waitcnt vmcnt(0)
	v_add_f64 v[10:11], v[51:52], v[10:11]
	v_add_f64 v[10:11], v[10:11], v[14:15]
	scratch_load_b64 v[14:15], off, off offset:264 ; 8-byte Folded Reload
	s_waitcnt vmcnt(0)
	v_add_f64 v[8:9], v[8:9], v[14:15]
	scratch_load_b64 v[14:15], off, off offset:256 ; 8-byte Folded Reload
	s_waitcnt vmcnt(0)
	;; [unrolled: 3-line block ×28, first 2 shown]
	v_add_f64 v[10:11], v[10:11], v[14:15]
	v_mul_f64 v[14:15], v[8:9], v[26:27]
	s_delay_alu instid0(VALU_DEP_2) | instskip(NEXT) | instid1(VALU_DEP_2)
	v_mul_f64 v[26:27], v[10:11], v[26:27]
	v_fma_f64 v[10:11], v[10:11], v[28:29], -v[14:15]
	scratch_load_b64 v[14:15], off, off offset:584 ; 8-byte Folded Reload
	v_fma_f64 v[8:9], v[8:9], v[28:29], v[26:27]
	s_clause 0x1
	scratch_load_b64 v[26:27], off, off offset:624
	scratch_load_b64 v[28:29], off, off offset:576
	s_waitcnt vmcnt(2)
	v_fma_f64 v[14:15], v[61:62], s[26:27], -v[14:15]
	s_waitcnt vmcnt(1)
	v_fma_f64 v[26:27], v[65:66], s[26:27], v[26:27]
	s_delay_alu instid0(VALU_DEP_2) | instskip(SKIP_2) | instid1(VALU_DEP_3)
	v_add_f64 v[14:15], v[51:52], v[14:15]
	s_waitcnt vmcnt(0)
	v_fma_f64 v[28:29], v[63:64], s[24:25], -v[28:29]
	v_add_f64 v[26:27], v[49:50], v[26:27]
	s_delay_alu instid0(VALU_DEP_2)
	v_add_f64 v[14:15], v[28:29], v[14:15]
	scratch_load_b64 v[28:29], off, off offset:616 ; 8-byte Folded Reload
	v_add_f64 v[26:27], v[30:31], v[26:27]
	scratch_load_b64 v[30:31], off, off offset:632 ; 8-byte Folded Reload
	s_waitcnt vmcnt(1)
	v_fma_f64 v[28:29], v[69:70], s[22:23], -v[28:29]
	s_waitcnt vmcnt(0)
	v_fma_f64 v[30:31], v[71:72], s[22:23], v[30:31]
	s_delay_alu instid0(VALU_DEP_2)
	v_add_f64 v[14:15], v[28:29], v[14:15]
	scratch_load_b64 v[28:29], off, off offset:648 ; 8-byte Folded Reload
	v_add_f64 v[26:27], v[30:31], v[26:27]
	scratch_load_b64 v[30:31], off, off offset:656 ; 8-byte Folded Reload
	s_waitcnt vmcnt(0)
	v_fma_f64 v[30:31], v[75:76], s[20:21], v[30:31]
	s_delay_alu instid0(VALU_DEP_1) | instskip(SKIP_2) | instid1(VALU_DEP_1)
	v_add_f64 v[26:27], v[30:31], v[26:27]
	scratch_load_b64 v[30:31], off, off offset:640 ; 8-byte Folded Reload
	v_fma_f64 v[28:29], v[73:74], s[20:21], -v[28:29]
	v_add_f64 v[14:15], v[28:29], v[14:15]
	scratch_load_b64 v[28:29], off, off offset:664 ; 8-byte Folded Reload
	s_waitcnt vmcnt(1)
	v_fma_f64 v[30:31], v[77:78], s[16:17], -v[30:31]
	s_delay_alu instid0(VALU_DEP_1) | instskip(SKIP_3) | instid1(VALU_DEP_3)
	v_add_f64 v[14:15], v[30:31], v[14:15]
	v_fma_f64 v[30:31], v[91:92], s[8:9], v[226:227]
	s_waitcnt vmcnt(0)
	v_fma_f64 v[28:29], v[79:80], s[16:17], v[28:29]
	v_add_f64 v[14:15], v[36:37], v[14:15]
	v_fma_f64 v[36:37], v[95:96], s[6:7], -v[236:237]
	s_delay_alu instid0(VALU_DEP_3) | instskip(SKIP_1) | instid1(VALU_DEP_2)
	v_add_f64 v[26:27], v[28:29], v[26:27]
	v_fma_f64 v[28:29], v[89:90], s[8:9], -v[228:229]
	v_add_f64 v[26:27], v[38:39], v[26:27]
	v_fma_f64 v[38:39], v[93:94], s[6:7], v[232:233]
	s_delay_alu instid0(VALU_DEP_3) | instskip(NEXT) | instid1(VALU_DEP_3)
	v_add_f64 v[14:15], v[28:29], v[14:15]
	v_add_f64 v[26:27], v[30:31], v[26:27]
	s_delay_alu instid0(VALU_DEP_2) | instskip(NEXT) | instid1(VALU_DEP_2)
	v_add_f64 v[14:15], v[36:37], v[14:15]
	v_add_f64 v[26:27], v[38:39], v[26:27]
	s_delay_alu instid0(VALU_DEP_1) | instskip(NEXT) | instid1(VALU_DEP_3)
	v_mul_f64 v[28:29], v[26:27], v[12:13]
	v_mul_f64 v[12:13], v[14:15], v[12:13]
	s_delay_alu instid0(VALU_DEP_2) | instskip(SKIP_4) | instid1(VALU_DEP_1)
	v_fma_f64 v[14:15], v[14:15], v[24:25], -v[28:29]
	scratch_load_b32 v28, off, off          ; 4-byte Folded Reload
	v_fma_f64 v[12:13], v[26:27], v[24:25], v[12:13]
	s_waitcnt vmcnt(0)
	v_mad_u64_u32 v[24:25], null, s14, v28, 0
	v_mad_u64_u32 v[26:27], null, s15, v28, v[25:26]
	scratch_load_b32 v27, off, off offset:84 ; 4-byte Folded Reload
	v_mov_b32_e32 v25, v26
	scratch_load_b32 v26, off, off offset:212 ; 4-byte Folded Reload
	v_lshlrev_b64 v[24:25], 4, v[24:25]
	s_waitcnt vmcnt(0)
	v_mul_hi_u32 v26, 0x226b903, v26
	s_delay_alu instid0(VALU_DEP_1) | instskip(NEXT) | instid1(VALU_DEP_1)
	v_mad_u32_u24 v30, 0x121, v26, v27
	v_mad_u64_u32 v[26:27], null, s12, v30, 0
	s_delay_alu instid0(VALU_DEP_1) | instskip(NEXT) | instid1(VALU_DEP_1)
	v_mad_u64_u32 v[28:29], null, s13, v30, v[27:28]
	v_mov_b32_e32 v27, v28
	v_add_co_u32 v28, vcc_lo, s0, v24
	v_add_co_ci_u32_e32 v29, vcc_lo, s1, v25, vcc_lo
	s_delay_alu instid0(VALU_DEP_3) | instskip(NEXT) | instid1(VALU_DEP_1)
	v_lshlrev_b64 v[24:25], 4, v[26:27]
	v_add_co_u32 v24, vcc_lo, v28, v24
	s_delay_alu instid0(VALU_DEP_2) | instskip(SKIP_2) | instid1(VALU_DEP_1)
	v_add_co_ci_u32_e32 v25, vcc_lo, v29, v25, vcc_lo
	global_store_b128 v[24:25], v[8:11], off
	v_add_nc_u32_e32 v24, 17, v30
	v_mad_u64_u32 v[8:9], null, s12, v24, 0
	s_delay_alu instid0(VALU_DEP_1) | instskip(NEXT) | instid1(VALU_DEP_1)
	v_mad_u64_u32 v[10:11], null, s13, v24, v[9:10]
	v_dual_mov_b32 v9, v10 :: v_dual_add_nc_u32 v10, 51, v30
	s_delay_alu instid0(VALU_DEP_1) | instskip(NEXT) | instid1(VALU_DEP_1)
	v_lshlrev_b64 v[8:9], 4, v[8:9]
	v_add_co_u32 v8, vcc_lo, v28, v8
	s_delay_alu instid0(VALU_DEP_2) | instskip(SKIP_2) | instid1(VALU_DEP_1)
	v_add_co_ci_u32_e32 v9, vcc_lo, v29, v9, vcc_lo
	global_store_b128 v[8:9], v[4:7], off
	v_add_nc_u32_e32 v8, 34, v30
	v_mad_u64_u32 v[4:5], null, s12, v8, 0
	s_delay_alu instid0(VALU_DEP_1) | instskip(NEXT) | instid1(VALU_DEP_1)
	v_mad_u64_u32 v[6:7], null, s13, v8, v[5:6]
	v_mov_b32_e32 v5, v6
	v_mad_u64_u32 v[6:7], null, s12, v10, 0
	s_delay_alu instid0(VALU_DEP_2) | instskip(NEXT) | instid1(VALU_DEP_2)
	v_lshlrev_b64 v[4:5], 4, v[4:5]
	v_mad_u64_u32 v[8:9], null, s13, v10, v[7:8]
	s_delay_alu instid0(VALU_DEP_2) | instskip(NEXT) | instid1(VALU_DEP_3)
	v_add_co_u32 v4, vcc_lo, v28, v4
	v_add_co_ci_u32_e32 v5, vcc_lo, v29, v5, vcc_lo
	v_add_nc_u32_e32 v9, 0x55, v30
	s_delay_alu instid0(VALU_DEP_4) | instskip(SKIP_3) | instid1(VALU_DEP_2)
	v_dual_mov_b32 v7, v8 :: v_dual_add_nc_u32 v10, 0x66, v30
	global_store_b128 v[4:5], v[0:3], off
	v_add_nc_u32_e32 v8, 0x44, v30
	v_lshlrev_b64 v[6:7], 4, v[6:7]
	v_mad_u64_u32 v[0:1], null, s12, v8, 0
	s_delay_alu instid0(VALU_DEP_2) | instskip(NEXT) | instid1(VALU_DEP_3)
	v_add_co_u32 v2, vcc_lo, v28, v6
	v_add_co_ci_u32_e32 v3, vcc_lo, v29, v7, vcc_lo
	global_store_b128 v[2:3], v[12:15], off
	v_mad_u64_u32 v[2:3], null, s12, v9, 0
	v_add_nc_u32_e32 v13, 0x88, v30
	v_add_nc_u32_e32 v14, 0x99, v30
	;; [unrolled: 1-line block ×3, first 2 shown]
	s_delay_alu instid0(VALU_DEP_4) | instskip(SKIP_1) | instid1(VALU_DEP_2)
	v_mad_u64_u32 v[4:5], null, s13, v8, v[1:2]
	v_mad_u64_u32 v[5:6], null, s12, v10, 0
	v_mov_b32_e32 v1, v4
	v_mad_u64_u32 v[7:8], null, s13, v9, v[3:4]
	s_delay_alu instid0(VALU_DEP_3) | instskip(NEXT) | instid1(VALU_DEP_3)
	v_mov_b32_e32 v3, v6
	v_lshlrev_b64 v[0:1], 4, v[0:1]
	s_delay_alu instid0(VALU_DEP_2) | instskip(SKIP_1) | instid1(VALU_DEP_3)
	v_mad_u64_u32 v[8:9], null, s13, v10, v[3:4]
	v_add_nc_u32_e32 v10, 0x77, v30
	v_add_co_u32 v0, vcc_lo, v28, v0
	v_mov_b32_e32 v3, v7
	v_add_co_ci_u32_e32 v1, vcc_lo, v29, v1, vcc_lo
	v_mov_b32_e32 v6, v8
	v_mad_u64_u32 v[7:8], null, s12, v10, 0
	global_store_b128 v[0:1], v[192:195], off
	v_lshlrev_b64 v[2:3], 4, v[2:3]
	v_lshlrev_b64 v[0:1], 4, v[5:6]
	v_mad_u64_u32 v[5:6], null, s12, v13, 0
	v_mov_b32_e32 v4, v8
	s_delay_alu instid0(VALU_DEP_4) | instskip(SKIP_1) | instid1(VALU_DEP_3)
	v_add_co_u32 v2, vcc_lo, v28, v2
	v_add_co_ci_u32_e32 v3, vcc_lo, v29, v3, vcc_lo
	v_mad_u64_u32 v[8:9], null, s13, v10, v[4:5]
	v_mov_b32_e32 v4, v6
	v_mad_u64_u32 v[9:10], null, s12, v14, 0
	v_add_co_u32 v0, vcc_lo, v28, v0
	v_add_co_ci_u32_e32 v1, vcc_lo, v29, v1, vcc_lo
	s_delay_alu instid0(VALU_DEP_4)
	v_mad_u64_u32 v[11:12], null, s13, v13, v[4:5]
	global_store_b128 v[2:3], v[32:35], off
	v_mad_u64_u32 v[2:3], null, s12, v15, 0
	global_store_b128 v[0:1], v[41:44], off
	v_dual_mov_b32 v0, v10 :: v_dual_add_nc_u32 v1, 0xbb, v30
	v_mov_b32_e32 v6, v11
	v_lshlrev_b64 v[7:8], 4, v[7:8]
	s_delay_alu instid0(VALU_DEP_3)
	v_mad_u64_u32 v[10:11], null, s13, v14, v[0:1]
	v_mad_u64_u32 v[11:12], null, s12, v1, 0
	v_mov_b32_e32 v0, v3
	v_lshlrev_b64 v[3:4], 4, v[5:6]
	v_add_co_u32 v7, vcc_lo, v28, v7
	v_add_co_ci_u32_e32 v8, vcc_lo, v29, v8, vcc_lo
	s_delay_alu instid0(VALU_DEP_4)
	v_mad_u64_u32 v[5:6], null, s13, v15, v[0:1]
	v_mov_b32_e32 v0, v12
	v_add_co_u32 v12, vcc_lo, v28, v3
	v_add_co_ci_u32_e32 v13, vcc_lo, v29, v4, vcc_lo
	s_clause 0x1
	global_store_b128 v[7:8], v[20:23], off
	global_store_b128 v[12:13], v[16:19], off
	scratch_load_b128 v[17:20], off, off offset:92 ; 16-byte Folded Reload
	v_lshlrev_b64 v[9:10], 4, v[9:10]
	v_mov_b32_e32 v3, v5
	v_mad_u64_u32 v[4:5], null, s13, v1, v[0:1]
	v_add_nc_u32_e32 v14, 0xee, v30
	v_add_nc_u32_e32 v13, 0xdd, v30
	s_delay_alu instid0(VALU_DEP_4)
	v_lshlrev_b64 v[0:1], 4, v[2:3]
	v_add_co_u32 v2, vcc_lo, v28, v9
	v_add_co_ci_u32_e32 v3, vcc_lo, v29, v10, vcc_lo
	v_add_nc_u32_e32 v10, 0xcc, v30
	v_mov_b32_e32 v12, v4
	v_add_co_u32 v0, vcc_lo, v28, v0
	v_add_co_ci_u32_e32 v1, vcc_lo, v29, v1, vcc_lo
	s_delay_alu instid0(VALU_DEP_4)
	v_mad_u64_u32 v[4:5], null, s12, v10, 0
	v_mad_u64_u32 v[6:7], null, s12, v14, 0
	global_store_b128 v[2:3], v[147:150], off
	v_lshlrev_b64 v[2:3], 4, v[11:12]
	global_store_b128 v[0:1], v[97:100], off
	v_mad_u64_u32 v[0:1], null, s12, v13, 0
	v_add_nc_u32_e32 v15, 0xff, v30
	v_mad_u64_u32 v[8:9], null, s13, v10, v[5:6]
	v_add_co_u32 v2, vcc_lo, v28, v2
	v_add_nc_u32_e32 v16, 0x110, v30
	v_add_co_ci_u32_e32 v3, vcc_lo, v29, v3, vcc_lo
	s_delay_alu instid0(VALU_DEP_3) | instskip(SKIP_3) | instid1(VALU_DEP_3)
	v_mad_u64_u32 v[9:10], null, s13, v13, v[1:2]
	v_mov_b32_e32 v1, v7
	v_mad_u64_u32 v[10:11], null, s12, v15, 0
	v_mov_b32_e32 v5, v8
	v_mad_u64_u32 v[12:13], null, s13, v14, v[1:2]
	v_mad_u64_u32 v[13:14], null, s12, v16, 0
	v_mov_b32_e32 v1, v9
	s_delay_alu instid0(VALU_DEP_3) | instskip(NEXT) | instid1(VALU_DEP_2)
	v_mov_b32_e32 v7, v12
	v_lshlrev_b64 v[0:1], 4, v[0:1]
	s_waitcnt vmcnt(0)
	global_store_b128 v[2:3], v[17:20], off
	v_lshlrev_b64 v[3:4], 4, v[4:5]
	v_mov_b32_e32 v2, v11
	v_lshlrev_b64 v[5:6], 4, v[6:7]
	s_delay_alu instid0(VALU_DEP_2) | instskip(SKIP_4) | instid1(VALU_DEP_3)
	v_mad_u64_u32 v[8:9], null, s13, v15, v[2:3]
	v_mov_b32_e32 v2, v14
	v_add_co_u32 v3, vcc_lo, v28, v3
	v_add_co_ci_u32_e32 v4, vcc_lo, v29, v4, vcc_lo
	v_add_co_u32 v0, vcc_lo, v28, v0
	v_mad_u64_u32 v[14:15], null, s13, v16, v[2:3]
	v_mov_b32_e32 v11, v8
	v_add_co_ci_u32_e32 v1, vcc_lo, v29, v1, vcc_lo
	v_add_co_u32 v5, vcc_lo, v28, v5
	s_delay_alu instid0(VALU_DEP_3)
	v_lshlrev_b64 v[7:8], 4, v[10:11]
	v_lshlrev_b64 v[9:10], 4, v[13:14]
	scratch_load_b128 v[11:14], off, off offset:68 ; 16-byte Folded Reload
	v_add_co_ci_u32_e32 v6, vcc_lo, v29, v6, vcc_lo
	v_add_co_u32 v7, vcc_lo, v28, v7
	v_add_co_ci_u32_e32 v8, vcc_lo, v29, v8, vcc_lo
	v_add_co_u32 v9, vcc_lo, v28, v9
	v_add_co_ci_u32_e32 v10, vcc_lo, v29, v10, vcc_lo
	s_waitcnt vmcnt(0)
	global_store_b128 v[3:4], v[11:14], off
	scratch_load_b128 v[11:14], off, off offset:52 ; 16-byte Folded Reload
	s_waitcnt vmcnt(0)
	global_store_b128 v[0:1], v[11:14], off
	scratch_load_b128 v[0:3], off, off offset:36 ; 16-byte Folded Reload
	;; [unrolled: 3-line block ×4, first 2 shown]
	s_waitcnt vmcnt(0)
	global_store_b128 v[9:10], v[0:3], off
.LBB0_50:
	s_endpgm
	.section	.rodata,"a",@progbits
	.p2align	6, 0x0
	.amdhsa_kernel fft_rtc_back_len289_factors_17_17_wgs_119_tpt_17_dp_op_CI_CI_sbcc_twdbase5_3step_dirReg_intrinsicRead
		.amdhsa_group_segment_fixed_size 0
		.amdhsa_private_segment_fixed_size 740
		.amdhsa_kernarg_size 112
		.amdhsa_user_sgpr_count 15
		.amdhsa_user_sgpr_dispatch_ptr 0
		.amdhsa_user_sgpr_queue_ptr 0
		.amdhsa_user_sgpr_kernarg_segment_ptr 1
		.amdhsa_user_sgpr_dispatch_id 0
		.amdhsa_user_sgpr_private_segment_size 0
		.amdhsa_wavefront_size32 1
		.amdhsa_uses_dynamic_stack 0
		.amdhsa_enable_private_segment 1
		.amdhsa_system_sgpr_workgroup_id_x 1
		.amdhsa_system_sgpr_workgroup_id_y 0
		.amdhsa_system_sgpr_workgroup_id_z 0
		.amdhsa_system_sgpr_workgroup_info 0
		.amdhsa_system_vgpr_workitem_id 0
		.amdhsa_next_free_vgpr 256
		.amdhsa_next_free_sgpr 64
		.amdhsa_reserve_vcc 1
		.amdhsa_float_round_mode_32 0
		.amdhsa_float_round_mode_16_64 0
		.amdhsa_float_denorm_mode_32 3
		.amdhsa_float_denorm_mode_16_64 3
		.amdhsa_dx10_clamp 1
		.amdhsa_ieee_mode 1
		.amdhsa_fp16_overflow 0
		.amdhsa_workgroup_processor_mode 1
		.amdhsa_memory_ordered 1
		.amdhsa_forward_progress 0
		.amdhsa_shared_vgpr_count 0
		.amdhsa_exception_fp_ieee_invalid_op 0
		.amdhsa_exception_fp_denorm_src 0
		.amdhsa_exception_fp_ieee_div_zero 0
		.amdhsa_exception_fp_ieee_overflow 0
		.amdhsa_exception_fp_ieee_underflow 0
		.amdhsa_exception_fp_ieee_inexact 0
		.amdhsa_exception_int_div_zero 0
	.end_amdhsa_kernel
	.text
.Lfunc_end0:
	.size	fft_rtc_back_len289_factors_17_17_wgs_119_tpt_17_dp_op_CI_CI_sbcc_twdbase5_3step_dirReg_intrinsicRead, .Lfunc_end0-fft_rtc_back_len289_factors_17_17_wgs_119_tpt_17_dp_op_CI_CI_sbcc_twdbase5_3step_dirReg_intrinsicRead
                                        ; -- End function
	.section	.AMDGPU.csdata,"",@progbits
; Kernel info:
; codeLenInByte = 24108
; NumSgprs: 66
; NumVgprs: 256
; ScratchSize: 740
; MemoryBound: 0
; FloatMode: 240
; IeeeMode: 1
; LDSByteSize: 0 bytes/workgroup (compile time only)
; SGPRBlocks: 8
; VGPRBlocks: 31
; NumSGPRsForWavesPerEU: 66
; NumVGPRsForWavesPerEU: 256
; Occupancy: 5
; WaveLimiterHint : 1
; COMPUTE_PGM_RSRC2:SCRATCH_EN: 1
; COMPUTE_PGM_RSRC2:USER_SGPR: 15
; COMPUTE_PGM_RSRC2:TRAP_HANDLER: 0
; COMPUTE_PGM_RSRC2:TGID_X_EN: 1
; COMPUTE_PGM_RSRC2:TGID_Y_EN: 0
; COMPUTE_PGM_RSRC2:TGID_Z_EN: 0
; COMPUTE_PGM_RSRC2:TIDIG_COMP_CNT: 0
	.text
	.p2alignl 7, 3214868480
	.fill 96, 4, 3214868480
	.type	__hip_cuid_de64d8706bf948d9,@object ; @__hip_cuid_de64d8706bf948d9
	.section	.bss,"aw",@nobits
	.globl	__hip_cuid_de64d8706bf948d9
__hip_cuid_de64d8706bf948d9:
	.byte	0                               ; 0x0
	.size	__hip_cuid_de64d8706bf948d9, 1

	.ident	"AMD clang version 19.0.0git (https://github.com/RadeonOpenCompute/llvm-project roc-6.4.0 25133 c7fe45cf4b819c5991fe208aaa96edf142730f1d)"
	.section	".note.GNU-stack","",@progbits
	.addrsig
	.addrsig_sym __hip_cuid_de64d8706bf948d9
	.amdgpu_metadata
---
amdhsa.kernels:
  - .args:
      - .actual_access:  read_only
        .address_space:  global
        .offset:         0
        .size:           8
        .value_kind:     global_buffer
      - .address_space:  global
        .offset:         8
        .size:           8
        .value_kind:     global_buffer
      - .offset:         16
        .size:           8
        .value_kind:     by_value
      - .actual_access:  read_only
        .address_space:  global
        .offset:         24
        .size:           8
        .value_kind:     global_buffer
      - .actual_access:  read_only
        .address_space:  global
        .offset:         32
        .size:           8
        .value_kind:     global_buffer
      - .actual_access:  read_only
        .address_space:  global
        .offset:         40
        .size:           8
        .value_kind:     global_buffer
      - .offset:         48
        .size:           8
        .value_kind:     by_value
      - .actual_access:  read_only
        .address_space:  global
        .offset:         56
        .size:           8
        .value_kind:     global_buffer
      - .actual_access:  read_only
        .address_space:  global
        .offset:         64
        .size:           8
        .value_kind:     global_buffer
      - .offset:         72
        .size:           4
        .value_kind:     by_value
      - .actual_access:  read_only
        .address_space:  global
        .offset:         80
        .size:           8
        .value_kind:     global_buffer
      - .actual_access:  read_only
        .address_space:  global
        .offset:         88
        .size:           8
        .value_kind:     global_buffer
      - .actual_access:  read_only
        .address_space:  global
        .offset:         96
        .size:           8
        .value_kind:     global_buffer
      - .actual_access:  write_only
        .address_space:  global
        .offset:         104
        .size:           8
        .value_kind:     global_buffer
    .group_segment_fixed_size: 0
    .kernarg_segment_align: 8
    .kernarg_segment_size: 112
    .language:       OpenCL C
    .language_version:
      - 2
      - 0
    .max_flat_workgroup_size: 119
    .name:           fft_rtc_back_len289_factors_17_17_wgs_119_tpt_17_dp_op_CI_CI_sbcc_twdbase5_3step_dirReg_intrinsicRead
    .private_segment_fixed_size: 740
    .sgpr_count:     66
    .sgpr_spill_count: 0
    .symbol:         fft_rtc_back_len289_factors_17_17_wgs_119_tpt_17_dp_op_CI_CI_sbcc_twdbase5_3step_dirReg_intrinsicRead.kd
    .uniform_work_group_size: 1
    .uses_dynamic_stack: false
    .vgpr_count:     256
    .vgpr_spill_count: 225
    .wavefront_size: 32
    .workgroup_processor_mode: 1
amdhsa.target:   amdgcn-amd-amdhsa--gfx1100
amdhsa.version:
  - 1
  - 2
...

	.end_amdgpu_metadata
